;; amdgpu-corpus repo=ROCm/rocFFT kind=compiled arch=gfx1201 opt=O3
	.text
	.amdgcn_target "amdgcn-amd-amdhsa--gfx1201"
	.amdhsa_code_object_version 6
	.protected	fft_rtc_fwd_len224_factors_2_2_2_4_7_wgs_196_tpt_14_dim3_sp_ip_CI_sbcc_twdbase8_2step_dirReg ; -- Begin function fft_rtc_fwd_len224_factors_2_2_2_4_7_wgs_196_tpt_14_dim3_sp_ip_CI_sbcc_twdbase8_2step_dirReg
	.globl	fft_rtc_fwd_len224_factors_2_2_2_4_7_wgs_196_tpt_14_dim3_sp_ip_CI_sbcc_twdbase8_2step_dirReg
	.p2align	8
	.type	fft_rtc_fwd_len224_factors_2_2_2_4_7_wgs_196_tpt_14_dim3_sp_ip_CI_sbcc_twdbase8_2step_dirReg,@function
fft_rtc_fwd_len224_factors_2_2_2_4_7_wgs_196_tpt_14_dim3_sp_ip_CI_sbcc_twdbase8_2step_dirReg: ; @fft_rtc_fwd_len224_factors_2_2_2_4_7_wgs_196_tpt_14_dim3_sp_ip_CI_sbcc_twdbase8_2step_dirReg
; %bb.0:
	s_load_b128 s[8:11], s[0:1], 0x10
	s_mov_b32 s3, 0
	s_mov_b32 s4, 0x49240800
	;; [unrolled: 1-line block ×4, first 2 shown]
	s_delay_alu instid0(SALU_CYCLE_1) | instskip(NEXT) | instid1(SALU_CYCLE_1)
	s_add_nc_u64 s[4:5], s[2:3], s[4:5]
	s_add_co_i32 s5, s5, 0x12492460
	s_delay_alu instid0(SALU_CYCLE_1) | instskip(NEXT) | instid1(SALU_CYCLE_1)
	s_mul_u64 s[6:7], s[4:5], -14
	s_mul_hi_u32 s15, s4, s7
	s_mul_i32 s14, s4, s7
	s_mul_hi_u32 s2, s4, s6
	s_mul_i32 s17, s5, s6
	s_add_nc_u64 s[14:15], s[2:3], s[14:15]
	s_mul_hi_u32 s16, s5, s6
	s_mul_hi_u32 s18, s5, s7
	s_add_co_u32 s2, s14, s17
	s_wait_kmcnt 0x0
	s_load_b64 s[12:13], s[8:9], 0x8
	s_add_co_ci_u32 s2, s15, s16
	s_mul_i32 s6, s5, s7
	s_add_co_ci_u32 s7, s18, 0
	s_delay_alu instid0(SALU_CYCLE_1) | instskip(NEXT) | instid1(SALU_CYCLE_1)
	s_add_nc_u64 s[6:7], s[2:3], s[6:7]
	v_add_co_u32 v1, s2, s4, s6
	s_delay_alu instid0(VALU_DEP_1) | instskip(SKIP_1) | instid1(VALU_DEP_1)
	s_cmp_lg_u32 s2, 0
	s_add_co_ci_u32 s14, s5, s7
	v_readfirstlane_b32 s15, v1
	s_wait_kmcnt 0x0
	s_add_nc_u64 s[4:5], s[12:13], -1
	s_wait_alu 0xfffe
	s_mul_hi_u32 s7, s4, s14
	s_mul_i32 s6, s4, s14
	s_mul_hi_u32 s2, s4, s15
	s_mul_hi_u32 s17, s5, s15
	s_mul_i32 s15, s5, s15
	s_wait_alu 0xfffe
	s_add_nc_u64 s[6:7], s[2:3], s[6:7]
	s_mul_hi_u32 s16, s5, s14
	s_wait_alu 0xfffe
	s_add_co_u32 s2, s6, s15
	s_add_co_ci_u32 s2, s7, s17
	s_mul_i32 s14, s5, s14
	s_add_co_ci_u32 s15, s16, 0
	s_delay_alu instid0(SALU_CYCLE_1) | instskip(SKIP_2) | instid1(SALU_CYCLE_1)
	s_add_nc_u64 s[6:7], s[2:3], s[14:15]
	s_wait_alu 0xfffe
	s_mul_u64 s[14:15], s[6:7], 14
	v_sub_co_u32 v1, s2, s4, s14
	s_delay_alu instid0(VALU_DEP_1) | instskip(SKIP_1) | instid1(VALU_DEP_1)
	s_cmp_lg_u32 s2, 0
	s_sub_co_ci_u32 s16, s5, s15
	v_sub_co_u32 v2, s4, v1, 14
	s_delay_alu instid0(VALU_DEP_1) | instskip(SKIP_2) | instid1(VALU_DEP_2)
	s_cmp_lg_u32 s4, 0
	v_readfirstlane_b32 s17, v1
	s_sub_co_ci_u32 s14, s16, 0
	v_readfirstlane_b32 s2, v2
	s_add_nc_u64 s[4:5], s[6:7], 1
	s_delay_alu instid0(VALU_DEP_1)
	s_cmp_gt_u32 s2, 13
	s_cselect_b32 s2, -1, 0
	s_wait_alu 0xfffe
	s_cmp_eq_u32 s14, 0
	s_add_nc_u64 s[14:15], s[6:7], 2
	s_cselect_b32 s2, s2, -1
	s_delay_alu instid0(SALU_CYCLE_1)
	s_cmp_lg_u32 s2, 0
	s_wait_alu 0xfffe
	s_cselect_b32 s2, s14, s4
	s_cselect_b32 s4, s15, s5
	s_cmp_gt_u32 s17, 13
	s_cselect_b32 s5, -1, 0
	s_cmp_eq_u32 s16, 0
	s_mov_b64 s[16:17], 0
	s_wait_alu 0xfffe
	s_cselect_b32 s5, s5, -1
	s_wait_alu 0xfffe
	s_cmp_lg_u32 s5, 0
	s_cselect_b32 s5, s4, s7
	s_cselect_b32 s4, s2, s6
	s_mov_b32 s2, ttmp9
	s_wait_alu 0xfffe
	s_add_nc_u64 s[14:15], s[4:5], 1
	s_wait_alu 0xfffe
	v_cmp_lt_u64_e64 s4, s[2:3], s[14:15]
	s_delay_alu instid0(VALU_DEP_1)
	s_and_b32 vcc_lo, exec_lo, s4
	s_cbranch_vccnz .LBB0_2
; %bb.1:
	v_cvt_f32_u32_e32 v1, s14
	s_sub_co_i32 s5, 0, s14
	s_mov_b32 s17, s3
	s_delay_alu instid0(VALU_DEP_1) | instskip(NEXT) | instid1(TRANS32_DEP_1)
	v_rcp_iflag_f32_e32 v1, v1
	v_mul_f32_e32 v1, 0x4f7ffffe, v1
	s_delay_alu instid0(VALU_DEP_1) | instskip(NEXT) | instid1(VALU_DEP_1)
	v_cvt_u32_f32_e32 v1, v1
	v_readfirstlane_b32 s4, v1
	s_wait_alu 0xfffe
	s_delay_alu instid0(VALU_DEP_1)
	s_mul_i32 s5, s5, s4
	s_wait_alu 0xfffe
	s_mul_hi_u32 s5, s4, s5
	s_wait_alu 0xfffe
	s_add_co_i32 s4, s4, s5
	s_wait_alu 0xfffe
	s_mul_hi_u32 s4, s2, s4
	s_wait_alu 0xfffe
	s_mul_i32 s5, s4, s14
	s_add_co_i32 s6, s4, 1
	s_wait_alu 0xfffe
	s_sub_co_i32 s5, s2, s5
	s_wait_alu 0xfffe
	s_sub_co_i32 s7, s5, s14
	s_cmp_ge_u32 s5, s14
	s_cselect_b32 s4, s6, s4
	s_wait_alu 0xfffe
	s_cselect_b32 s5, s7, s5
	s_add_co_i32 s6, s4, 1
	s_wait_alu 0xfffe
	s_cmp_ge_u32 s5, s14
	s_cselect_b32 s16, s6, s4
.LBB0_2:
	s_load_b64 s[8:9], s[8:9], 0x10
	s_mov_b64 s[18:19], s[16:17]
	s_wait_kmcnt 0x0
	v_cmp_lt_u64_e64 s4, s[16:17], s[8:9]
	s_delay_alu instid0(VALU_DEP_1)
	s_and_b32 vcc_lo, exec_lo, s4
	s_cbranch_vccnz .LBB0_4
; %bb.3:
	v_cvt_f32_u32_e32 v1, s8
	s_sub_co_i32 s5, 0, s8
	s_mov_b32 s19, 0
	s_delay_alu instid0(VALU_DEP_1) | instskip(NEXT) | instid1(TRANS32_DEP_1)
	v_rcp_iflag_f32_e32 v1, v1
	v_mul_f32_e32 v1, 0x4f7ffffe, v1
	s_delay_alu instid0(VALU_DEP_1) | instskip(NEXT) | instid1(VALU_DEP_1)
	v_cvt_u32_f32_e32 v1, v1
	v_readfirstlane_b32 s4, v1
	s_wait_alu 0xfffe
	s_delay_alu instid0(VALU_DEP_1)
	s_mul_i32 s5, s5, s4
	s_wait_alu 0xfffe
	s_mul_hi_u32 s5, s4, s5
	s_wait_alu 0xfffe
	s_add_co_i32 s4, s4, s5
	s_wait_alu 0xfffe
	s_mul_hi_u32 s4, s16, s4
	s_wait_alu 0xfffe
	s_mul_i32 s4, s4, s8
	s_wait_alu 0xfffe
	s_sub_co_i32 s4, s16, s4
	s_wait_alu 0xfffe
	s_sub_co_i32 s5, s4, s8
	s_cmp_ge_u32 s4, s8
	s_wait_alu 0xfffe
	s_cselect_b32 s4, s5, s4
	s_wait_alu 0xfffe
	s_sub_co_i32 s5, s4, s8
	s_cmp_ge_u32 s4, s8
	s_wait_alu 0xfffe
	s_cselect_b32 s18, s5, s4
.LBB0_4:
	s_clause 0x1
	s_load_b128 s[4:7], s[10:11], 0x0
	s_load_b64 s[20:21], s[10:11], 0x10
	s_mul_u64 s[8:9], s[8:9], s[14:15]
	s_mov_b64 s[22:23], 0
	s_wait_alu 0xfffe
	v_cmp_lt_u64_e64 s9, s[2:3], s[8:9]
	s_delay_alu instid0(VALU_DEP_1)
	s_and_b32 vcc_lo, exec_lo, s9
	s_cbranch_vccnz .LBB0_6
; %bb.5:
	v_cvt_f32_u32_e32 v1, s8
	s_sub_co_i32 s22, 0, s8
	s_delay_alu instid0(VALU_DEP_1) | instskip(NEXT) | instid1(TRANS32_DEP_1)
	v_rcp_iflag_f32_e32 v1, v1
	v_mul_f32_e32 v1, 0x4f7ffffe, v1
	s_delay_alu instid0(VALU_DEP_1) | instskip(NEXT) | instid1(VALU_DEP_1)
	v_cvt_u32_f32_e32 v1, v1
	v_readfirstlane_b32 s9, v1
	s_delay_alu instid0(VALU_DEP_1) | instskip(NEXT) | instid1(SALU_CYCLE_1)
	s_mul_i32 s22, s22, s9
	s_mul_hi_u32 s22, s9, s22
	s_delay_alu instid0(SALU_CYCLE_1)
	s_add_co_i32 s9, s9, s22
	s_wait_alu 0xfffe
	s_mul_hi_u32 s9, s2, s9
	s_wait_alu 0xfffe
	s_mul_i32 s22, s9, s8
	s_add_co_i32 s23, s9, 1
	s_sub_co_i32 s22, s2, s22
	s_delay_alu instid0(SALU_CYCLE_1)
	s_sub_co_i32 s24, s22, s8
	s_cmp_ge_u32 s22, s8
	s_cselect_b32 s9, s23, s9
	s_cselect_b32 s22, s24, s22
	s_wait_alu 0xfffe
	s_add_co_i32 s24, s9, 1
	s_cmp_ge_u32 s22, s8
	s_mov_b32 s23, 0
	s_cselect_b32 s22, s24, s9
.LBB0_6:
	v_mul_u32_u24_e32 v1, 0x124a, v0
	s_load_b64 s[10:11], s[10:11], 0x18
	s_mul_u64 s[8:9], s[16:17], s[14:15]
	s_wait_alu 0xfffe
	s_sub_nc_u64 s[2:3], s[2:3], s[8:9]
	v_lshrrev_b32_e32 v106, 16, v1
	s_clause 0x1
	s_load_b64 s[14:15], s[0:1], 0x0
	s_load_b64 s[8:9], s[0:1], 0x50
	s_mul_u64 s[16:17], s[2:3], 14
	s_wait_kmcnt 0x0
	s_mul_u64 s[2:3], s[20:21], s[18:19]
	s_wait_alu 0xfffe
	s_mul_u64 s[18:19], s[6:7], s[16:17]
	v_mul_lo_u16 v1, v106, 14
	s_add_nc_u64 s[20:21], s[16:17], 14
	s_add_nc_u64 s[18:19], s[2:3], s[18:19]
	v_cmp_gt_u64_e64 s2, s[20:21], s[12:13]
	v_cmp_le_u64_e64 s3, s[20:21], s[12:13]
	v_sub_nc_u16 v1, v0, v1
	v_add_nc_u32_e32 v34, 14, v106
	v_add_nc_u32_e32 v35, 28, v106
	v_add_nc_u32_e32 v36, 42, v106
	s_and_b32 vcc_lo, exec_lo, s2
	v_and_b32_e32 v108, 0xffff, v1
	v_add_nc_u32_e32 v37, 56, v106
	v_add_nc_u32_e32 v38, 0x46, v106
	;; [unrolled: 1-line block ×4, first 2 shown]
	v_add_co_u32 v61, s2, s16, v108
	s_wait_alu 0xf1ff
	v_add_co_ci_u32_e64 v62, null, s17, 0, s2
	s_mul_u64 s[10:11], s[10:11], s[22:23]
	s_mov_b32 s2, 0
	s_add_nc_u64 s[10:11], s[10:11], s[18:19]
	s_cbranch_vccnz .LBB0_8
; %bb.7:
	v_mad_co_u64_u32 v[1:2], null, s6, v108, 0
	v_mad_co_u64_u32 v[3:4], null, s4, v106, 0
	v_add_nc_u32_e32 v11, 0x70, v106
	s_lshl_b64 s[16:17], s[10:11], 3
	v_add_nc_u32_e32 v23, 0x9a, v106
	s_wait_alu 0xfffe
	s_add_nc_u64 s[16:17], s[8:9], s[16:17]
	v_add_nc_u32_e32 v43, 56, v106
	v_mad_co_u64_u32 v[5:6], null, s4, v11, 0
	v_mad_co_u64_u32 v[7:8], null, s7, v108, v[2:3]
	v_add_nc_u32_e32 v63, 14, v106
	v_add_nc_u32_e32 v27, 0xa8, v106
	;; [unrolled: 1-line block ×4, first 2 shown]
	v_mad_co_u64_u32 v[8:9], null, s5, v106, v[4:5]
	v_mov_b32_e32 v4, v6
	v_dual_mov_b32 v2, v7 :: v_dual_add_nc_u32 v13, 0x7e, v106
	v_mad_co_u64_u32 v[9:10], null, s4, v63, 0
	s_delay_alu instid0(VALU_DEP_3) | instskip(SKIP_1) | instid1(VALU_DEP_4)
	v_mad_co_u64_u32 v[6:7], null, s5, v11, v[4:5]
	v_mov_b32_e32 v4, v8
	v_lshlrev_b64_e32 v[1:2], 3, v[1:2]
	v_mad_co_u64_u32 v[7:8], null, s4, v13, 0
	v_add_nc_u32_e32 v107, 28, v106
	s_delay_alu instid0(VALU_DEP_4)
	v_lshlrev_b64_e32 v[3:4], 3, v[3:4]
	v_lshlrev_b64_e32 v[5:6], 3, v[5:6]
	s_wait_alu 0xfffe
	v_add_co_u32 v51, vcc_lo, s16, v1
	v_add_co_ci_u32_e32 v52, vcc_lo, s17, v2, vcc_lo
	v_mad_co_u64_u32 v[1:2], null, s5, v63, v[10:11]
	v_mov_b32_e32 v2, v8
	v_mad_co_u64_u32 v[11:12], null, s4, v107, 0
	v_add_co_u32 v3, vcc_lo, v51, v3
	s_wait_alu 0xfffd
	v_add_co_ci_u32_e32 v4, vcc_lo, v52, v4, vcc_lo
	v_mov_b32_e32 v10, v1
	s_delay_alu instid0(VALU_DEP_3)
	v_mad_co_u64_u32 v[13:14], null, s5, v13, v[2:3]
	v_mov_b32_e32 v1, v12
	v_add_co_u32 v14, vcc_lo, v51, v5
	s_wait_alu 0xfffd
	v_add_co_ci_u32_e32 v15, vcc_lo, v52, v6, vcc_lo
	v_lshlrev_b64_e32 v[5:6], 3, v[9:10]
	v_mad_co_u64_u32 v[1:2], null, s5, v107, v[1:2]
	v_dual_mov_b32 v8, v13 :: v_dual_add_nc_u32 v13, 0x8c, v106
	v_add_nc_u32_e32 v33, 42, v106
	s_delay_alu instid0(VALU_DEP_4)
	v_add_co_u32 v9, vcc_lo, v51, v5
	s_wait_alu 0xfffd
	v_add_co_ci_u32_e32 v10, vcc_lo, v52, v6, vcc_lo
	v_mov_b32_e32 v12, v1
	v_lshlrev_b64_e32 v[5:6], 3, v[7:8]
	v_mad_co_u64_u32 v[16:17], null, s4, v13, 0
	v_mad_co_u64_u32 v[18:19], null, s4, v33, 0
	s_delay_alu instid0(VALU_DEP_4) | instskip(NEXT) | instid1(VALU_DEP_4)
	v_lshlrev_b64_e32 v[11:12], 3, v[11:12]
	v_add_co_u32 v1, vcc_lo, v51, v5
	s_wait_alu 0xfffd
	v_add_co_ci_u32_e32 v2, vcc_lo, v52, v6, vcc_lo
	s_delay_alu instid0(VALU_DEP_4) | instskip(SKIP_3) | instid1(VALU_DEP_4)
	v_dual_mov_b32 v5, v17 :: v_dual_mov_b32 v6, v19
	v_add_nc_u32_e32 v42, 0x46, v106
	v_mad_co_u64_u32 v[45:46], null, s4, v41, 0
	v_add_nc_u32_e32 v44, 0x54, v106
	v_mad_co_u64_u32 v[19:20], null, s5, v13, v[5:6]
	v_mad_co_u64_u32 v[20:21], null, s5, v33, v[6:7]
	;; [unrolled: 1-line block ×3, first 2 shown]
	s_clause 0x3
	global_load_b64 v[5:6], v[3:4], off
	global_load_b64 v[7:8], v[14:15], off
	;; [unrolled: 1-line block ×4, first 2 shown]
	v_add_co_u32 v9, vcc_lo, v51, v11
	v_mov_b32_e32 v17, v19
	s_wait_alu 0xfffd
	v_add_co_ci_u32_e32 v10, vcc_lo, v52, v12, vcc_lo
	v_mov_b32_e32 v11, v22
	v_mov_b32_e32 v19, v20
	v_lshlrev_b64_e32 v[12:13], 3, v[16:17]
	v_mad_co_u64_u32 v[25:26], null, s4, v42, 0
	v_add_nc_u32_e32 v32, 0xc4, v106
	s_delay_alu instid0(VALU_DEP_3)
	v_mad_co_u64_u32 v[14:15], null, s5, v23, v[11:12]
	v_lshlrev_b64_e32 v[15:16], 3, v[18:19]
	v_mad_co_u64_u32 v[17:18], null, s4, v43, 0
	v_add_co_u32 v19, vcc_lo, v51, v12
	s_wait_alu 0xfffd
	v_add_co_ci_u32_e32 v20, vcc_lo, v52, v13, vcc_lo
	v_mov_b32_e32 v22, v14
	v_add_co_u32 v13, vcc_lo, v51, v15
	s_wait_alu 0xfffd
	v_add_co_ci_u32_e32 v14, vcc_lo, v52, v16, vcc_lo
	s_delay_alu instid0(VALU_DEP_3) | instskip(SKIP_2) | instid1(VALU_DEP_3)
	v_lshlrev_b64_e32 v[15:16], 3, v[21:22]
	v_mad_co_u64_u32 v[21:22], null, s4, v27, 0
	v_mov_b32_e32 v11, v18
	v_add_co_u32 v23, vcc_lo, v51, v15
	s_delay_alu instid0(VALU_DEP_2) | instskip(NEXT) | instid1(VALU_DEP_4)
	v_mad_co_u64_u32 v[11:12], null, s5, v43, v[11:12]
	v_mov_b32_e32 v12, v22
	s_wait_alu 0xfffd
	v_add_co_ci_u32_e32 v24, vcc_lo, v52, v16, vcc_lo
	s_delay_alu instid0(VALU_DEP_2) | instskip(NEXT) | instid1(VALU_DEP_4)
	v_mad_co_u64_u32 v[27:28], null, s5, v27, v[12:13]
	v_mov_b32_e32 v18, v11
	s_clause 0x3
	global_load_b64 v[11:12], v[9:10], off
	global_load_b64 v[15:16], v[19:20], off
	;; [unrolled: 1-line block ×4, first 2 shown]
	v_mov_b32_e32 v19, v26
	v_mad_co_u64_u32 v[23:24], null, s4, v29, 0
	v_lshlrev_b64_e32 v[17:18], 3, v[17:18]
	v_mov_b32_e32 v22, v27
	s_delay_alu instid0(VALU_DEP_4) | instskip(SKIP_1) | instid1(VALU_DEP_3)
	v_mad_co_u64_u32 v[19:20], null, s5, v42, v[19:20]
	v_mad_co_u64_u32 v[27:28], null, s4, v44, 0
	v_lshlrev_b64_e32 v[20:21], 3, v[21:22]
	v_add_co_u32 v17, vcc_lo, v51, v17
	s_wait_alu 0xfffd
	v_add_co_ci_u32_e32 v18, vcc_lo, v52, v18, vcc_lo
	v_dual_mov_b32 v26, v19 :: v_dual_mov_b32 v19, v24
	s_delay_alu instid0(VALU_DEP_1) | instskip(NEXT) | instid1(VALU_DEP_2)
	v_lshlrev_b64_e32 v[25:26], 3, v[25:26]
	v_mad_co_u64_u32 v[29:30], null, s5, v29, v[19:20]
	v_mad_co_u64_u32 v[30:31], null, s4, v32, 0
	v_add_co_u32 v19, vcc_lo, v51, v20
	s_wait_alu 0xfffd
	v_add_co_ci_u32_e32 v20, vcc_lo, v52, v21, vcc_lo
	s_delay_alu instid0(VALU_DEP_4)
	v_dual_mov_b32 v24, v29 :: v_dual_mov_b32 v21, v28
	v_add_nc_u32_e32 v29, 0xd2, v106
	v_add_co_u32 v25, vcc_lo, v51, v25
	s_wait_alu 0xfffd
	v_add_co_ci_u32_e32 v26, vcc_lo, v52, v26, vcc_lo
	v_mad_co_u64_u32 v[21:22], null, s5, v44, v[21:22]
	v_mov_b32_e32 v22, v31
	v_mad_co_u64_u32 v[47:48], null, s4, v29, 0
	s_delay_alu instid0(VALU_DEP_2) | instskip(SKIP_3) | instid1(VALU_DEP_3)
	v_mad_co_u64_u32 v[31:32], null, s5, v32, v[22:23]
	v_lshlrev_b64_e32 v[23:24], 3, v[23:24]
	v_mov_b32_e32 v22, v46
	v_mov_b32_e32 v28, v21
	v_add_co_u32 v49, vcc_lo, v51, v23
	s_delay_alu instid0(VALU_DEP_3) | instskip(SKIP_4) | instid1(VALU_DEP_4)
	v_mad_co_u64_u32 v[21:22], null, s5, v41, v[22:23]
	v_mov_b32_e32 v22, v48
	s_wait_alu 0xfffd
	v_add_co_ci_u32_e32 v50, vcc_lo, v52, v24, vcc_lo
	v_lshlrev_b64_e32 v[23:24], 3, v[27:28]
	v_mov_b32_e32 v46, v21
	s_delay_alu instid0(VALU_DEP_2)
	v_mad_co_u64_u32 v[27:28], null, s5, v29, v[22:23]
	v_lshlrev_b64_e32 v[28:29], 3, v[30:31]
	v_add_co_u32 v21, vcc_lo, v51, v23
	s_wait_alu 0xfffd
	v_add_co_ci_u32_e32 v22, vcc_lo, v52, v24, vcc_lo
	v_lshlrev_b64_e32 v[23:24], 3, v[45:46]
	v_mov_b32_e32 v48, v27
	v_add_co_u32 v45, vcc_lo, v51, v28
	s_wait_alu 0xfffd
	v_add_co_ci_u32_e32 v46, vcc_lo, v52, v29, vcc_lo
	s_delay_alu instid0(VALU_DEP_3) | instskip(SKIP_3) | instid1(VALU_DEP_3)
	v_lshlrev_b64_e32 v[27:28], 3, v[47:48]
	v_add_co_u32 v47, vcc_lo, v51, v23
	s_wait_alu 0xfffd
	v_add_co_ci_u32_e32 v48, vcc_lo, v52, v24, vcc_lo
	v_add_co_u32 v51, vcc_lo, v51, v27
	s_wait_alu 0xfffd
	v_add_co_ci_u32_e32 v52, vcc_lo, v52, v28, vcc_lo
	s_clause 0x7
	global_load_b64 v[27:28], v[17:18], off
	global_load_b64 v[31:32], v[19:20], off
	;; [unrolled: 1-line block ×8, first 2 shown]
	s_and_not1_b32 vcc_lo, exec_lo, s2
	s_wait_alu 0xfffe
	s_cbranch_vccz .LBB0_9
	s_branch .LBB0_14
.LBB0_8:
                                        ; implicit-def: $vgpr1
                                        ; implicit-def: $vgpr19
                                        ; implicit-def: $vgpr17
                                        ; implicit-def: $vgpr25
                                        ; implicit-def: $vgpr21
                                        ; implicit-def: $vgpr29
                                        ; implicit-def: $vgpr23
                                        ; implicit-def: $vgpr31
                                        ; implicit-def: $vgpr27
                                        ; implicit-def: $vgpr13
                                        ; implicit-def: $vgpr9
                                        ; implicit-def: $vgpr15
                                        ; implicit-def: $vgpr11
                                        ; implicit-def: $vgpr3
                                        ; implicit-def: $vgpr7
                                        ; implicit-def: $vgpr5
                                        ; implicit-def: $vgpr63
                                        ; implicit-def: $vgpr107
                                        ; implicit-def: $vgpr33
                                        ; implicit-def: $vgpr43
                                        ; implicit-def: $vgpr42
                                        ; implicit-def: $vgpr44
                                        ; implicit-def: $vgpr41
.LBB0_9:
	s_mov_b32 s2, exec_lo
                                        ; implicit-def: $vgpr63
                                        ; implicit-def: $vgpr107
                                        ; implicit-def: $vgpr33
                                        ; implicit-def: $vgpr43
                                        ; implicit-def: $vgpr42
                                        ; implicit-def: $vgpr44
                                        ; implicit-def: $vgpr41
	v_cmpx_le_u64_e64 s[12:13], v[61:62]
	s_wait_alu 0xfffe
	s_xor_b32 s2, exec_lo, s2
; %bb.10:
	v_add_nc_u32_e32 v63, 14, v106
	v_add_nc_u32_e32 v107, 28, v106
	;; [unrolled: 1-line block ×7, first 2 shown]
                                        ; implicit-def: $vgpr34
                                        ; implicit-def: $vgpr35
                                        ; implicit-def: $vgpr36
                                        ; implicit-def: $vgpr37
                                        ; implicit-def: $vgpr38
                                        ; implicit-def: $vgpr39
                                        ; implicit-def: $vgpr40
; %bb.11:
	s_wait_alu 0xfffe
	s_or_saveexec_b32 s2, s2
                                        ; implicit-def: $vgpr1
                                        ; implicit-def: $vgpr19
                                        ; implicit-def: $vgpr17
                                        ; implicit-def: $vgpr25
                                        ; implicit-def: $vgpr21
                                        ; implicit-def: $vgpr29
                                        ; implicit-def: $vgpr23
                                        ; implicit-def: $vgpr31
                                        ; implicit-def: $vgpr27
                                        ; implicit-def: $vgpr13
                                        ; implicit-def: $vgpr9
                                        ; implicit-def: $vgpr15
                                        ; implicit-def: $vgpr11
                                        ; implicit-def: $vgpr3
                                        ; implicit-def: $vgpr7
                                        ; implicit-def: $vgpr5
	s_wait_alu 0xfffe
	s_xor_b32 exec_lo, exec_lo, s2
	s_cbranch_execz .LBB0_13
; %bb.12:
	s_wait_loadcnt 0xc
	v_mad_co_u64_u32 v[1:2], null, s6, v108, 0
	v_mad_co_u64_u32 v[3:4], null, s4, v106, 0
	;; [unrolled: 1-line block ×3, first 2 shown]
	s_wait_loadcnt 0x8
	v_add_nc_u32_e32 v13, 0x70, v106
	v_add_nc_u32_e32 v14, 0x7e, v106
	s_lshl_b64 s[16:17], s[10:11], 3
	s_wait_loadcnt 0x7
	v_add_nc_u32_e32 v28, 0xb6, v106
	v_mad_co_u64_u32 v[9:10], null, s7, v108, v[2:3]
	v_mov_b32_e32 v2, v6
	v_mad_co_u64_u32 v[7:8], null, s4, v13, 0
	v_mad_co_u64_u32 v[10:11], null, s5, v106, v[4:5]
	s_delay_alu instid0(VALU_DEP_3) | instskip(SKIP_2) | instid1(VALU_DEP_4)
	v_mad_co_u64_u32 v[11:12], null, s5, v34, v[2:3]
	s_wait_loadcnt 0x1
	v_dual_mov_b32 v2, v9 :: v_dual_add_nc_u32 v17, 0x8c, v106
	v_dual_mov_b32 v4, v8 :: v_dual_add_nc_u32 v21, 0x9a, v106
	s_wait_alu 0xfffe
	s_add_nc_u64 s[16:17], s[8:9], s[16:17]
	s_delay_alu instid0(VALU_DEP_2)
	v_lshlrev_b64_e32 v[1:2], 3, v[1:2]
	v_add_nc_u32_e32 v46, 0xd2, v106
	v_mad_co_u64_u32 v[8:9], null, s5, v13, v[4:5]
	v_mov_b32_e32 v4, v10
	v_mad_co_u64_u32 v[9:10], null, s4, v14, 0
	s_wait_alu 0xfffe
	v_add_co_u32 v48, vcc_lo, s16, v1
	s_delay_alu instid0(VALU_DEP_3)
	v_lshlrev_b64_e32 v[3:4], 3, v[3:4]
	s_wait_alu 0xfffd
	v_add_co_ci_u32_e32 v49, vcc_lo, s17, v2, vcc_lo
	s_wait_loadcnt 0x0
	v_mad_co_u64_u32 v[19:20], null, s4, v21, 0
	v_mov_b32_e32 v6, v11
	v_add_co_u32 v1, vcc_lo, v48, v3
	s_wait_alu 0xfffd
	v_add_co_ci_u32_e32 v2, vcc_lo, v49, v4, vcc_lo
	s_delay_alu instid0(VALU_DEP_3)
	v_lshlrev_b64_e32 v[4:5], 3, v[5:6]
	v_mov_b32_e32 v3, v10
	v_lshlrev_b64_e32 v[7:8], 3, v[7:8]
	v_mov_b32_e32 v63, v34
	v_mov_b32_e32 v107, v35
	v_add_nc_u32_e32 v25, 0xa8, v106
	v_mad_co_u64_u32 v[10:11], null, s5, v14, v[3:4]
	v_mad_co_u64_u32 v[11:12], null, s4, v35, 0
	;; [unrolled: 1-line block ×3, first 2 shown]
	v_add_co_u32 v7, vcc_lo, v48, v7
	s_wait_alu 0xfffd
	v_add_co_ci_u32_e32 v8, vcc_lo, v49, v8, vcc_lo
	s_delay_alu instid0(VALU_DEP_4)
	v_mov_b32_e32 v3, v12
	v_add_co_u32 v15, vcc_lo, v48, v4
	v_mov_b32_e32 v4, v14
	s_wait_alu 0xfffd
	v_add_co_ci_u32_e32 v16, vcc_lo, v49, v5, vcc_lo
	v_lshlrev_b64_e32 v[5:6], 3, v[9:10]
	v_add_nc_u32_e32 v33, 0xc4, v106
	v_mad_co_u64_u32 v[9:10], null, s5, v35, v[3:4]
	s_delay_alu instid0(VALU_DEP_3) | instskip(SKIP_1) | instid1(VALU_DEP_3)
	v_mad_co_u64_u32 v[3:4], null, s5, v17, v[4:5]
	v_add_co_u32 v17, vcc_lo, v48, v5
	v_mov_b32_e32 v12, v9
	v_mad_co_u64_u32 v[9:10], null, s4, v36, 0
	s_wait_alu 0xfffd
	v_add_co_ci_u32_e32 v18, vcc_lo, v49, v6, vcc_lo
	s_delay_alu instid0(VALU_DEP_3)
	v_lshlrev_b64_e32 v[11:12], 3, v[11:12]
	v_mov_b32_e32 v14, v3
	s_clause 0x3
	global_load_b64 v[5:6], v[1:2], off
	global_load_b64 v[7:8], v[7:8], off
	;; [unrolled: 1-line block ×4, first 2 shown]
	v_mov_b32_e32 v15, v20
	v_mad_co_u64_u32 v[16:17], null, s5, v36, v[10:11]
	v_add_co_u32 v11, vcc_lo, v48, v11
	s_wait_alu 0xfffd
	v_add_co_ci_u32_e32 v12, vcc_lo, v49, v12, vcc_lo
	s_delay_alu instid0(VALU_DEP_3) | instskip(SKIP_2) | instid1(VALU_DEP_3)
	v_mad_co_u64_u32 v[17:18], null, s5, v21, v[15:16]
	v_mad_co_u64_u32 v[21:22], null, s4, v37, 0
	v_mov_b32_e32 v10, v16
	v_mov_b32_e32 v20, v17
	s_delay_alu instid0(VALU_DEP_2) | instskip(NEXT) | instid1(VALU_DEP_4)
	v_lshlrev_b64_e32 v[9:10], 3, v[9:10]
	v_mov_b32_e32 v15, v22
	s_delay_alu instid0(VALU_DEP_3) | instskip(NEXT) | instid1(VALU_DEP_1)
	v_lshlrev_b64_e32 v[16:17], 3, v[19:20]
	v_mad_co_u64_u32 v[18:19], null, s5, v37, v[15:16]
	v_mad_co_u64_u32 v[19:20], null, s4, v25, 0
	s_delay_alu instid0(VALU_DEP_1) | instskip(SKIP_1) | instid1(VALU_DEP_2)
	v_dual_mov_b32 v22, v18 :: v_dual_mov_b32 v15, v20
	v_lshlrev_b64_e32 v[13:14], 3, v[13:14]
	v_mad_co_u64_u32 v[25:26], null, s5, v25, v[15:16]
	s_delay_alu instid0(VALU_DEP_2) | instskip(SKIP_1) | instid1(VALU_DEP_3)
	v_add_co_u32 v13, vcc_lo, v48, v13
	s_wait_alu 0xfffd
	v_add_co_ci_u32_e32 v14, vcc_lo, v49, v14, vcc_lo
	v_add_co_u32 v9, vcc_lo, v48, v9
	s_wait_alu 0xfffd
	v_add_co_ci_u32_e32 v10, vcc_lo, v49, v10, vcc_lo
	;; [unrolled: 3-line block ×3, first 2 shown]
	v_mad_co_u64_u32 v[17:18], null, s4, v38, 0
	s_clause 0x3
	global_load_b64 v[11:12], v[11:12], off
	global_load_b64 v[15:16], v[13:14], off
	;; [unrolled: 1-line block ×4, first 2 shown]
	v_mov_b32_e32 v20, v25
	v_mad_co_u64_u32 v[23:24], null, s4, v28, 0
	v_mad_co_u64_u32 v[25:26], null, s5, v38, v[18:19]
	;; [unrolled: 1-line block ×3, first 2 shown]
	s_delay_alu instid0(VALU_DEP_2) | instskip(NEXT) | instid1(VALU_DEP_4)
	v_mov_b32_e32 v18, v25
	v_mad_co_u64_u32 v[24:25], null, s5, v28, v[24:25]
	v_mad_co_u64_u32 v[28:29], null, s4, v33, 0
	s_delay_alu instid0(VALU_DEP_4) | instskip(NEXT) | instid1(VALU_DEP_3)
	v_mov_b32_e32 v25, v27
	v_lshlrev_b64_e32 v[23:24], 3, v[23:24]
	s_delay_alu instid0(VALU_DEP_2) | instskip(NEXT) | instid1(VALU_DEP_4)
	v_mad_co_u64_u32 v[30:31], null, s5, v39, v[25:26]
	v_mov_b32_e32 v25, v29
	v_mad_co_u64_u32 v[31:32], null, s4, v40, 0
	v_lshlrev_b64_e32 v[21:22], 3, v[21:22]
	s_delay_alu instid0(VALU_DEP_3)
	v_mad_co_u64_u32 v[41:42], null, s5, v33, v[25:26]
	v_mov_b32_e32 v27, v30
	v_lshlrev_b64_e32 v[19:20], 3, v[19:20]
	v_mad_co_u64_u32 v[42:43], null, s4, v46, 0
	v_add_co_u32 v21, vcc_lo, v48, v21
	v_mov_b32_e32 v29, v41
	v_lshlrev_b64_e32 v[17:18], 3, v[17:18]
	v_mov_b32_e32 v25, v32
	s_wait_alu 0xfffd
	v_add_co_ci_u32_e32 v22, vcc_lo, v49, v22, vcc_lo
	v_add_co_u32 v19, vcc_lo, v48, v19
	s_wait_alu 0xfffd
	v_add_co_ci_u32_e32 v20, vcc_lo, v49, v20, vcc_lo
	v_add_co_u32 v17, vcc_lo, v48, v17
	v_mad_co_u64_u32 v[32:33], null, s5, v40, v[25:26]
	v_mov_b32_e32 v25, v43
	s_wait_alu 0xfffd
	v_add_co_ci_u32_e32 v18, vcc_lo, v49, v18, vcc_lo
	v_add_co_u32 v44, vcc_lo, v48, v23
	s_wait_alu 0xfffd
	v_add_co_ci_u32_e32 v45, vcc_lo, v49, v24, vcc_lo
	v_lshlrev_b64_e32 v[23:24], 3, v[26:27]
	v_mad_co_u64_u32 v[25:26], null, s5, v46, v[25:26]
	v_lshlrev_b64_e32 v[26:27], 3, v[28:29]
	v_mov_b32_e32 v33, v36
	s_delay_alu instid0(VALU_DEP_4)
	v_add_co_u32 v46, vcc_lo, v48, v23
	s_wait_alu 0xfffd
	v_add_co_ci_u32_e32 v47, vcc_lo, v49, v24, vcc_lo
	v_mov_b32_e32 v43, v25
	v_lshlrev_b64_e32 v[23:24], 3, v[31:32]
	v_add_co_u32 v25, vcc_lo, v48, v26
	s_wait_alu 0xfffd
	v_add_co_ci_u32_e32 v26, vcc_lo, v49, v27, vcc_lo
	v_lshlrev_b64_e32 v[27:28], 3, v[42:43]
	s_delay_alu instid0(VALU_DEP_4) | instskip(SKIP_3) | instid1(VALU_DEP_4)
	v_add_co_u32 v41, vcc_lo, v48, v23
	s_wait_alu 0xfffd
	v_add_co_ci_u32_e32 v42, vcc_lo, v49, v24, vcc_lo
	v_mov_b32_e32 v43, v37
	v_add_co_u32 v48, vcc_lo, v48, v27
	s_wait_alu 0xfffd
	v_add_co_ci_u32_e32 v49, vcc_lo, v49, v28, vcc_lo
	s_clause 0x7
	global_load_b64 v[27:28], v[21:22], off
	global_load_b64 v[31:32], v[19:20], off
	;; [unrolled: 1-line block ×8, first 2 shown]
	v_mov_b32_e32 v42, v38
	v_dual_mov_b32 v44, v39 :: v_dual_mov_b32 v41, v40
.LBB0_13:
	s_or_b32 exec_lo, exec_lo, s2
.LBB0_14:
	s_wait_loadcnt 0xc
	v_dual_sub_f32 v34, v3, v1 :: v_dual_sub_f32 v35, v4, v2
	v_dual_sub_f32 v7, v5, v7 :: v_dual_sub_f32 v8, v6, v8
	v_lshlrev_b32_e32 v1, 3, v108
	s_delay_alu instid0(VALU_DEP_3) | instskip(NEXT) | instid1(VALU_DEP_4)
	v_fma_f32 v2, v3, 2.0, -v34
	v_fma_f32 v3, v4, 2.0, -v35
	v_mul_u32_u24_e32 v4, 0xe0, v106
	v_mul_i32_i24_e32 v36, 0xe0, v63
	s_wait_loadcnt 0xa
	v_dual_sub_f32 v15, v11, v15 :: v_dual_sub_f32 v16, v12, v16
	v_mul_i32_i24_e32 v37, 0xe0, v107
	v_fma_f32 v5, v5, 2.0, -v7
	v_fma_f32 v6, v6, 2.0, -v8
	s_wait_loadcnt 0x8
	v_dual_sub_f32 v13, v9, v13 :: v_dual_sub_f32 v14, v10, v14
	v_add3_u32 v4, 0, v4, v1
	v_mul_i32_i24_e32 v38, 0xe0, v33
	v_add3_u32 v36, 0, v36, v1
	v_fma_f32 v11, v11, 2.0, -v15
	v_fma_f32 v12, v12, 2.0, -v16
	v_add3_u32 v37, 0, v37, v1
	s_wait_loadcnt 0x6
	v_dual_sub_f32 v31, v27, v31 :: v_dual_sub_f32 v32, v28, v32
	v_fma_f32 v9, v9, 2.0, -v13
	v_fma_f32 v10, v10, 2.0, -v14
	ds_store_2addr_b64 v4, v[5:6], v[7:8] offset1:14
	ds_store_2addr_b64 v36, v[2:3], v[34:35] offset1:14
	;; [unrolled: 1-line block ×3, first 2 shown]
	v_add3_u32 v2, 0, v38, v1
	v_mul_i32_i24_e32 v3, 0xe0, v43
	s_wait_loadcnt 0x4
	v_dual_sub_f32 v29, v23, v29 :: v_dual_sub_f32 v30, v24, v30
	v_mul_i32_i24_e32 v4, 0xe0, v42
	s_wait_loadcnt 0x2
	v_dual_sub_f32 v25, v21, v25 :: v_dual_sub_f32 v26, v22, v26
	;; [unrolled: 3-line block ×3, first 2 shown]
	v_mul_i32_i24_e32 v6, 0xe0, v41
	v_fma_f32 v27, v27, 2.0, -v31
	v_fma_f32 v28, v28, 2.0, -v32
	ds_store_2addr_b64 v2, v[9:10], v[13:14] offset1:14
	v_add3_u32 v2, 0, v3, v1
	v_and_b32_e32 v7, 1, v106
	v_fma_f32 v23, v23, 2.0, -v29
	v_fma_f32 v24, v24, 2.0, -v30
	v_add3_u32 v3, 0, v4, v1
	v_fma_f32 v21, v21, 2.0, -v25
	v_fma_f32 v22, v22, 2.0, -v26
	v_add3_u32 v4, 0, v5, v1
	;; [unrolled: 3-line block ×3, first 2 shown]
	ds_store_2addr_b64 v2, v[27:28], v[31:32] offset1:14
	ds_store_2addr_b64 v3, v[23:24], v[29:30] offset1:14
	;; [unrolled: 1-line block ×4, first 2 shown]
	v_lshlrev_b32_e32 v2, 3, v7
	global_wb scope:SCOPE_SE
	s_wait_dscnt 0x0
	s_barrier_signal -1
	s_barrier_wait -1
	global_inv scope:SCOPE_SE
	global_load_b64 v[19:20], v2, s[14:15]
	v_mul_u32_u24_e32 v2, 0x70, v106
	v_mul_i32_i24_e32 v8, 0x70, v33
	v_mul_i32_i24_e32 v11, 0x70, v44
	;; [unrolled: 1-line block ×3, first 2 shown]
	v_lshlrev_b32_e32 v47, 1, v33
	v_lshlrev_b32_e32 v48, 1, v43
	;; [unrolled: 1-line block ×4, first 2 shown]
	v_add3_u32 v3, 0, v2, v1
	v_mul_i32_i24_e32 v4, 0x70, v63
	v_mul_i32_i24_e32 v6, 0x70, v107
	;; [unrolled: 1-line block ×4, first 2 shown]
	v_add3_u32 v2, 0, v8, v1
	v_add3_u32 v56, 0, v11, v1
	;; [unrolled: 1-line block ×3, first 2 shown]
	v_and_or_b32 v11, 0x7ffc, v47, v7
	v_and_or_b32 v12, 0x7ffc, v48, v7
	;; [unrolled: 1-line block ×4, first 2 shown]
	v_add_nc_u32_e32 v64, 0x3c00, v3
	v_add3_u32 v5, 0, v4, v1
	v_add3_u32 v4, 0, v6, v1
	;; [unrolled: 1-line block ×4, first 2 shown]
	ds_load_b64 v[21:22], v3
	ds_load_b64 v[23:24], v2
	;; [unrolled: 1-line block ×7, first 2 shown]
	ds_load_b64 v[36:37], v3 offset:21952
	ds_load_b64 v[38:39], v57
	v_mul_u32_u24_e32 v69, 0x70, v11
	v_mul_u32_u24_e32 v70, 0x70, v12
	;; [unrolled: 1-line block ×4, first 2 shown]
	ds_load_2addr_b64 v[11:14], v64 offset0:40 offset1:236
	v_lshlrev_b32_e32 v40, 1, v106
	v_lshlrev_b32_e32 v45, 1, v63
	;; [unrolled: 1-line block ×4, first 2 shown]
	v_add_nc_u32_e32 v60, 0x3000, v3
	v_and_or_b32 v8, v40, 60, v7
	v_add_nc_u32_e32 v65, 0x4800, v3
	v_and_b32_e32 v51, 3, v106
	v_and_or_b32 v15, 0x7ffc, v50, v7
	v_and_b32_e32 v52, 3, v63
	v_mul_u32_u24_e32 v66, 0x70, v8
	v_cmp_gt_u32_e64 s2, 56, v0
	s_mov_b32 s16, 0
	v_mul_u32_u24_e32 v73, 0x70, v15
	s_wait_loadcnt_dscnt 0x2
	v_mul_f32_e32 v87, v20, v36
	s_wait_dscnt 0x0
	v_mul_f32_e32 v78, v20, v12
	v_and_or_b32 v9, 0x7ffc, v45, v7
	v_mul_f32_e32 v81, v20, v13
	v_and_or_b32 v10, 0x7ffc, v46, v7
	v_mul_f32_e32 v79, v20, v11
	v_mul_f32_e32 v80, v20, v14
	v_mul_u32_u24_e32 v67, 0x70, v9
	v_fmac_f32_e32 v81, v19, v14
	v_mul_u32_u24_e32 v68, 0x70, v10
	ds_load_2addr_b64 v[7:10], v60 offset0:32 offset1:228
	v_mul_f32_e32 v86, v20, v37
	v_fma_f32 v11, v19, v11, -v78
	v_fmac_f32_e32 v79, v19, v12
	v_fma_f32 v13, v19, v13, -v80
	s_delay_alu instid0(VALU_DEP_3) | instskip(NEXT) | instid1(VALU_DEP_2)
	v_dual_sub_f32 v14, v24, v81 :: v_dual_sub_f32 v11, v34, v11
	v_sub_f32_e32 v13, v23, v13
	s_delay_alu instid0(VALU_DEP_2) | instskip(NEXT) | instid1(VALU_DEP_3)
	v_fma_f32 v24, v24, 2.0, -v14
	v_fma_f32 v34, v34, 2.0, -v11
	s_delay_alu instid0(VALU_DEP_3)
	v_fma_f32 v23, v23, 2.0, -v13
	s_wait_dscnt 0x0
	v_dual_mul_f32 v75, v20, v7 :: v_dual_and_b32 v54, 3, v42
	v_add_nc_u32_e32 v42, 0x5800, v3
	ds_load_2addr_b64 v[15:18], v65 offset0:48 offset1:244
	ds_load_2addr_b32 v[42:43], v42 offset0:248 offset1:249
	v_mul_f32_e32 v74, v20, v8
	v_mul_f32_e32 v77, v20, v9
	v_dual_mul_f32 v76, v20, v10 :: v_dual_and_b32 v53, 3, v33
	v_lshlrev_b32_e32 v58, 3, v51
	s_delay_alu instid0(VALU_DEP_4)
	v_fma_f32 v7, v19, v7, -v74
	v_fmac_f32_e32 v75, v19, v8
	v_fmac_f32_e32 v77, v19, v10
	v_fma_f32 v9, v19, v9, -v76
	v_lshlrev_b32_e32 v59, 3, v52
	v_add3_u32 v66, 0, v66, v1
	v_sub_f32_e32 v8, v22, v75
	v_sub_f32_e32 v10, v32, v77
	v_add3_u32 v67, 0, v67, v1
	v_add3_u32 v68, 0, v68, v1
	;; [unrolled: 1-line block ×3, first 2 shown]
	v_fma_f32 v22, v22, 2.0, -v8
	v_fma_f32 v32, v32, 2.0, -v10
	s_wait_dscnt 0x1
	v_mul_f32_e32 v83, v20, v15
	v_mul_f32_e32 v82, v20, v16
	;; [unrolled: 1-line block ×3, first 2 shown]
	s_wait_dscnt 0x0
	v_dual_mul_f32 v85, v20, v17 :: v_dual_mul_f32 v88, v43, v20
	v_mul_f32_e32 v89, v20, v42
	v_fmac_f32_e32 v83, v19, v16
	v_fma_f32 v15, v19, v15, -v82
	v_fma_f32 v17, v19, v17, -v84
	v_fmac_f32_e32 v85, v19, v18
	v_fma_f32 v20, v19, v36, -v86
	v_dual_fmac_f32 v87, v19, v37 :: v_dual_sub_f32 v16, v26, v83
	v_fma_f32 v36, v19, v42, -v88
	s_delay_alu instid0(VALU_DEP_4)
	v_dual_fmac_f32 v89, v43, v19 :: v_dual_sub_f32 v18, v28, v85
	v_sub_f32_e32 v7, v21, v7
	v_sub_f32_e32 v9, v31, v9
	v_dual_sub_f32 v12, v35, v79 :: v_dual_sub_f32 v19, v29, v20
	v_sub_f32_e32 v15, v25, v15
	v_dual_sub_f32 v17, v27, v17 :: v_dual_sub_f32 v20, v30, v87
	v_dual_sub_f32 v36, v38, v36 :: v_dual_sub_f32 v37, v39, v89
	v_fma_f32 v21, v21, 2.0, -v7
	v_fma_f32 v31, v31, 2.0, -v9
	;; [unrolled: 1-line block ×3, first 2 shown]
	v_add3_u32 v70, 0, v70, v1
	v_fma_f32 v25, v25, 2.0, -v15
	v_fma_f32 v26, v26, 2.0, -v16
	global_wb scope:SCOPE_SE
	s_barrier_signal -1
	s_barrier_wait -1
	global_inv scope:SCOPE_SE
	v_add3_u32 v71, 0, v71, v1
	v_add3_u32 v72, 0, v72, v1
	;; [unrolled: 1-line block ×3, first 2 shown]
	v_fma_f32 v27, v27, 2.0, -v17
	v_fma_f32 v28, v28, 2.0, -v18
	;; [unrolled: 1-line block ×6, first 2 shown]
	ds_store_2addr_b64 v66, v[21:22], v[7:8] offset1:28
	ds_store_2addr_b64 v67, v[31:32], v[9:10] offset1:28
	;; [unrolled: 1-line block ×8, first 2 shown]
	global_wb scope:SCOPE_SE
	s_wait_dscnt 0x0
	s_barrier_signal -1
	s_barrier_wait -1
	global_inv scope:SCOPE_SE
	s_clause 0x1
	global_load_b64 v[23:24], v58, s[14:15] offset:16
	global_load_b64 v[25:26], v59, s[14:15] offset:16
	v_lshlrev_b32_e32 v7, 3, v53
	v_and_b32_e32 v8, 3, v41
	v_and_or_b32 v10, 0x7ff8, v46, v51
	v_and_or_b32 v11, 0x7ff8, v47, v53
	;; [unrolled: 1-line block ×3, first 2 shown]
	global_load_b64 v[27:28], v7, s[14:15] offset:16
	v_lshlrev_b32_e32 v9, 3, v54
	v_lshlrev_b32_e32 v7, 3, v8
	s_clause 0x1
	global_load_b64 v[29:30], v9, s[14:15] offset:16
	global_load_b64 v[31:32], v7, s[14:15] offset:16
	v_and_or_b32 v7, v40, 56, v51
	v_and_or_b32 v9, 0x7ff8, v45, v52
	v_and_or_b32 v13, 0x7ff8, v49, v54
	v_and_or_b32 v14, 0x7ff8, v44, v51
	v_and_or_b32 v8, 0x7ff8, v50, v8
	v_mul_u32_u24_e32 v7, 0x70, v7
	v_mul_u32_u24_e32 v9, 0x70, v9
	;; [unrolled: 1-line block ×7, first 2 shown]
	v_and_b32_e32 v58, 7, v106
	v_mul_u32_u24_e32 v16, 0x70, v8
	v_add3_u32 v52, 0, v7, v1
	v_add3_u32 v53, 0, v9, v1
	v_add3_u32 v54, 0, v10, v1
	ds_load_2addr_b64 v[7:10], v60 offset0:32 offset1:228
	v_add3_u32 v67, 0, v11, v1
	v_add3_u32 v60, 0, v12, v1
	;; [unrolled: 1-line block ×4, first 2 shown]
	ds_load_2addr_b64 v[11:14], v64 offset0:40 offset1:236
	v_mul_u32_u24_e32 v15, 3, v58
	v_add_nc_u32_e32 v19, 0x5400, v3
	v_add3_u32 v64, 0, v16, v1
	v_and_b32_e32 v66, 7, v107
	s_delay_alu instid0(VALU_DEP_4)
	v_lshlrev_b32_e32 v51, 3, v15
	ds_load_b64 v[34:35], v3
	ds_load_2addr_b64 v[15:18], v65 offset0:48 offset1:244
	ds_load_b64 v[36:37], v2
	ds_load_b64 v[38:39], v5
	;; [unrolled: 1-line block ×3, first 2 shown]
	ds_load_2addr_b64 v[19:22], v19 offset0:56 offset1:252
	ds_load_b64 v[42:43], v6
	ds_load_b64 v[44:45], v55
	;; [unrolled: 1-line block ×4, first 2 shown]
	v_and_b32_e32 v59, 7, v63
	global_wb scope:SCOPE_SE
	s_wait_loadcnt_dscnt 0x0
	s_barrier_signal -1
	s_barrier_wait -1
	global_inv scope:SCOPE_SE
	v_mul_f32_e32 v72, v24, v16
	v_dual_mul_f32 v56, v24, v7 :: v_dual_mul_f32 v57, v26, v10
	v_dual_mul_f32 v26, v26, v9 :: v_dual_mul_f32 v55, v24, v8
	v_mul_f32_e32 v70, v24, v11
	s_delay_alu instid0(VALU_DEP_3)
	v_dual_mul_f32 v73, v24, v15 :: v_dual_fmac_f32 v56, v23, v8
	v_mul_f32_e32 v71, v28, v14
	v_mul_f32_e32 v28, v28, v13
	v_dual_mul_f32 v65, v24, v12 :: v_dual_fmac_f32 v26, v25, v10
	v_mul_f32_e32 v74, v18, v30
	v_mul_f32_e32 v30, v17, v30
	s_delay_alu instid0(VALU_DEP_4) | instskip(SKIP_2) | instid1(VALU_DEP_4)
	v_dual_fmac_f32 v28, v27, v14 :: v_dual_mul_f32 v75, v20, v24
	v_mul_f32_e32 v24, v19, v24
	v_mul_f32_e32 v76, v22, v32
	v_fmac_f32_e32 v30, v18, v29
	v_mul_f32_e32 v32, v21, v32
	v_fma_f32 v7, v23, v7, -v55
	v_fma_f32 v9, v25, v9, -v57
	;; [unrolled: 1-line block ×3, first 2 shown]
	v_fmac_f32_e32 v70, v23, v12
	v_fma_f32 v13, v27, v13, -v71
	v_sub_f32_e32 v7, v34, v7
	v_fma_f32 v15, v23, v15, -v72
	v_dual_fmac_f32 v73, v23, v16 :: v_dual_fmac_f32 v24, v20, v23
	v_fma_f32 v17, v17, v29, -v74
	v_fma_f32 v19, v19, v23, -v75
	;; [unrolled: 1-line block ×3, first 2 shown]
	v_dual_fmac_f32 v32, v22, v31 :: v_dual_sub_f32 v13, v36, v13
	v_dual_sub_f32 v8, v35, v56 :: v_dual_sub_f32 v9, v38, v9
	v_dual_sub_f32 v10, v39, v26 :: v_dual_sub_f32 v11, v40, v11
	;; [unrolled: 1-line block ×5, first 2 shown]
	v_mul_u32_u24_e32 v50, 3, v59
	v_dual_sub_f32 v18, v45, v30 :: v_dual_sub_f32 v21, v48, v21
	v_sub_f32_e32 v20, v47, v24
	v_sub_f32_e32 v22, v49, v32
	v_fma_f32 v23, v34, 2.0, -v7
	v_fma_f32 v24, v35, 2.0, -v8
	;; [unrolled: 1-line block ×16, first 2 shown]
	ds_store_2addr_b64 v52, v[23:24], v[7:8] offset1:56
	ds_store_2addr_b64 v53, v[25:26], v[9:10] offset1:56
	;; [unrolled: 1-line block ×8, first 2 shown]
	v_and_b32_e32 v23, 7, v33
	v_lshlrev_b32_e32 v15, 3, v50
	global_wb scope:SCOPE_SE
	s_wait_dscnt 0x0
	s_barrier_signal -1
	s_barrier_wait -1
	global_inv scope:SCOPE_SE
	s_clause 0x2
	global_load_b128 v[7:10], v51, s[14:15] offset:48
	global_load_b64 v[43:44], v51, s[14:15] offset:64
	global_load_b128 v[11:14], v15, s[14:15] offset:48
	v_mul_u32_u24_e32 v16, 3, v66
	v_mul_u32_u24_e32 v20, 3, v23
	v_add_nc_u32_e32 v31, 0x1e00, v3
	v_lshlrev_b32_e32 v27, 2, v33
	v_add_nc_u32_e32 v35, 0x3600, v3
	v_lshlrev_b32_e32 v19, 3, v16
	s_clause 0x1
	global_load_b64 v[45:46], v15, s[14:15] offset:64
	global_load_b128 v[15:18], v19, s[14:15] offset:48
	v_lshlrev_b32_e32 v24, 3, v20
	s_clause 0x2
	global_load_b64 v[47:48], v19, s[14:15] offset:64
	global_load_b128 v[19:22], v24, s[14:15] offset:48
	global_load_b64 v[49:50], v24, s[14:15] offset:64
	ds_load_b64 v[51:52], v6
	ds_load_2addr_b64 v[31:34], v31 offset0:20 offset1:216
	ds_load_2addr_b64 v[35:38], v35 offset0:36 offset1:232
	v_lshlrev_b32_e32 v24, 2, v106
	v_lshlrev_b32_e32 v25, 2, v63
	;; [unrolled: 1-line block ×3, first 2 shown]
	v_and_or_b32 v23, 0xffe0, v27, v23
	v_add_nc_u32_e32 v27, 0x2a00, v3
	v_add_nc_u32_e32 v28, 0x4200, v3
	;; [unrolled: 1-line block ×3, first 2 shown]
	v_and_or_b32 v26, 0xffe0, v26, v66
	v_mul_u32_u24_e32 v23, 0x70, v23
	v_add_nc_u32_e32 v69, 0x3e20, v3
	s_delay_alu instid0(VALU_DEP_3) | instskip(NEXT) | instid1(VALU_DEP_3)
	v_mul_u32_u24_e32 v26, 0x70, v26
	v_add3_u32 v74, 0, v23, v1
	s_delay_alu instid0(VALU_DEP_2) | instskip(SKIP_1) | instid1(VALU_DEP_1)
	v_add3_u32 v73, 0, v26, v1
	s_wait_loadcnt_dscnt 0x702
	v_dual_mul_f32 v6, v8, v52 :: v_dual_add_nc_u32 v77, 0x400, v73
	v_and_or_b32 v25, 0xffe0, v25, v59
	s_wait_loadcnt_dscnt 0x501
	v_mul_f32_e32 v79, v12, v32
	v_mul_f32_e32 v12, v12, v31
	v_and_or_b32 v24, 0x60, v24, v58
	s_wait_dscnt 0x0
	v_mul_f32_e32 v80, v36, v14
	v_mul_u32_u24_e32 v25, 0x70, v25
	v_mul_f32_e32 v14, v35, v14
	v_mul_f32_e32 v8, v8, v51
	v_mul_u32_u24_e32 v24, 0x70, v24
	v_fma_f32 v6, v7, v51, -v6
	v_add3_u32 v72, 0, v25, v1
	s_wait_loadcnt 0x3
	v_mul_f32_e32 v83, v38, v18
	v_mul_f32_e32 v82, v34, v16
	v_add3_u32 v71, 0, v24, v1
	ds_load_2addr_b64 v[23:26], v27 offset0:28 offset1:224
	ds_load_2addr_b64 v[27:30], v28 offset0:44 offset1:240
	;; [unrolled: 1-line block ×3, first 2 shown]
	ds_load_b64 v[53:54], v3
	ds_load_b64 v[1:2], v2
	;; [unrolled: 1-line block ×4, first 2 shown]
	ds_load_b64 v[59:60], v3 offset:23520
	v_dual_mul_f32 v16, v33, v16 :: v_dual_add_nc_u32 v75, 0x400, v71
	v_fmac_f32_e32 v14, v36, v13
	v_add_nc_u32_e32 v66, 0x1420, v3
	v_fmac_f32_e32 v8, v7, v52
	v_fmac_f32_e32 v12, v11, v32
	;; [unrolled: 1-line block ×3, first 2 shown]
	v_add_nc_u32_e32 v67, 0x2220, v3
	v_add_nc_u32_e32 v68, 0x3020, v3
	global_wb scope:SCOPE_SE
	s_wait_loadcnt_dscnt 0x0
	s_barrier_signal -1
	s_barrier_wait -1
	global_inv scope:SCOPE_SE
	v_dual_mul_f32 v81, v40, v46 :: v_dual_mul_f32 v84, v42, v48
	v_mul_f32_e32 v46, v39, v46
	v_mul_f32_e32 v64, v10, v26
	v_dual_mul_f32 v10, v10, v25 :: v_dual_mul_f32 v65, v44, v30
	v_mul_f32_e32 v44, v44, v29
	v_mul_f32_e32 v85, v24, v20
	;; [unrolled: 1-line block ×3, first 2 shown]
	v_fma_f32 v7, v9, v25, -v64
	v_fmac_f32_e32 v10, v9, v26
	v_fma_f32 v9, v11, v31, -v79
	v_fma_f32 v11, v35, v13, -v80
	;; [unrolled: 1-line block ×6, first 2 shown]
	v_dual_mul_f32 v20, v23, v20 :: v_dual_sub_f32 v29, v56, v14
	v_mul_f32_e32 v22, v27, v22
	v_add_nc_u32_e32 v78, 0x400, v74
	v_fma_f32 v23, v23, v19, -v85
	v_dual_mul_f32 v87, v60, v50 :: v_dual_add_nc_u32 v76, 0x400, v72
	s_delay_alu instid0(VALU_DEP_4)
	v_fmac_f32_e32 v22, v28, v21
	v_dual_sub_f32 v28, v55, v11 :: v_dual_sub_f32 v11, v9, v25
	v_sub_f32_e32 v25, v57, v15
	v_fmac_f32_e32 v20, v24, v19
	v_fma_f32 v19, v27, v21, -v86
	v_dual_sub_f32 v24, v53, v7 :: v_dual_sub_f32 v7, v6, v13
	v_fmac_f32_e32 v44, v43, v30
	v_fma_f32 v21, v59, v49, -v87
	s_delay_alu instid0(VALU_DEP_4) | instskip(SKIP_4) | instid1(VALU_DEP_4)
	v_dual_sub_f32 v31, v1, v19 :: v_dual_fmac_f32 v46, v40, v45
	v_mul_f32_e32 v48, v41, v48
	v_sub_f32_e32 v32, v2, v22
	v_fma_f32 v22, v9, 2.0, -v11
	v_add_f32_e32 v9, v29, v11
	v_dual_sub_f32 v13, v12, v46 :: v_dual_fmac_f32 v48, v42, v47
	v_mul_f32_e32 v18, v37, v18
	v_fma_f32 v33, v53, 2.0, -v24
	v_fma_f32 v19, v6, 2.0, -v7
	s_delay_alu instid0(VALU_DEP_4) | instskip(NEXT) | instid1(VALU_DEP_4)
	v_fma_f32 v37, v12, 2.0, -v13
	v_dual_sub_f32 v15, v16, v48 :: v_dual_fmac_f32 v18, v38, v17
	v_fma_f32 v17, v41, v47, -v84
	v_fma_f32 v35, v55, 2.0, -v28
	v_fma_f32 v36, v56, 2.0, -v29
	;; [unrolled: 1-line block ×3, first 2 shown]
	v_sub_f32_e32 v30, v58, v18
	v_sub_f32_e32 v14, v26, v17
	v_dual_sub_f32 v17, v23, v21 :: v_dual_add_nc_u32 v70, 0x4c20, v3
	v_sub_f32_e32 v27, v54, v10
	s_delay_alu instid0(VALU_DEP_4) | instskip(NEXT) | instid1(VALU_DEP_4)
	v_fma_f32 v39, v58, 2.0, -v30
	v_dual_add_f32 v11, v30, v14 :: v_dual_sub_f32 v10, v8, v44
	v_fma_f32 v26, v26, 2.0, -v14
	s_delay_alu instid0(VALU_DEP_4)
	v_fma_f32 v34, v54, 2.0, -v27
	v_fma_f32 v40, v16, 2.0, -v15
	;; [unrolled: 1-line block ×4, first 2 shown]
	v_mul_f32_e32 v50, v59, v50
	v_sub_f32_e32 v8, v28, v13
	v_fma_f32 v42, v2, 2.0, -v32
	v_fma_f32 v43, v23, 2.0, -v17
	v_sub_f32_e32 v13, v34, v21
	v_fmac_f32_e32 v50, v60, v49
	v_dual_sub_f32 v6, v24, v10 :: v_dual_add_f32 v7, v27, v7
	v_sub_f32_e32 v12, v33, v19
	v_add_f32_e32 v2, v32, v17
	s_delay_alu instid0(VALU_DEP_4) | instskip(SKIP_2) | instid1(VALU_DEP_3)
	v_sub_f32_e32 v18, v20, v50
	v_dual_sub_f32 v16, v35, v22 :: v_dual_sub_f32 v17, v36, v37
	v_dual_sub_f32 v10, v25, v15 :: v_dual_sub_f32 v21, v39, v40
	v_fma_f32 v44, v20, 2.0, -v18
	v_sub_f32_e32 v1, v31, v18
	v_sub_f32_e32 v20, v38, v26
	;; [unrolled: 1-line block ×3, first 2 shown]
	v_fma_f32 v14, v24, 2.0, -v6
	v_sub_f32_e32 v65, v42, v44
	v_fma_f32 v15, v27, 2.0, -v7
	v_fma_f32 v26, v33, 2.0, -v12
	;; [unrolled: 1-line block ×15, first 2 shown]
	ds_store_2addr_b64 v75, v[12:13], v[6:7] offset0:96 offset1:208
	ds_store_2addr_b64 v71, v[26:27], v[14:15] offset1:112
	ds_store_2addr_b64 v72, v[28:29], v[18:19] offset1:112
	ds_store_2addr_b64 v76, v[16:17], v[8:9] offset0:96 offset1:208
	ds_store_2addr_b64 v73, v[30:31], v[22:23] offset1:112
	ds_store_2addr_b64 v77, v[20:21], v[10:11] offset0:96 offset1:208
	ds_store_2addr_b64 v74, v[32:33], v[24:25] offset1:112
	ds_store_2addr_b64 v78, v[64:65], v[1:2] offset0:96 offset1:208
	global_wb scope:SCOPE_SE
	s_wait_dscnt 0x0
	s_barrier_signal -1
	s_barrier_wait -1
	global_inv scope:SCOPE_SE
	ds_load_2addr_stride64_b64 v[13:16], v3 offset1:7
	ds_load_2addr_b64 v[17:20], v66 offset1:252
	ds_load_2addr_b64 v[21:24], v67 offset1:252
	;; [unrolled: 1-line block ×5, first 2 shown]
	ds_load_b64 v[66:67], v5
	ds_load_b64 v[68:69], v3 offset:23072
                                        ; implicit-def: $vgpr8
                                        ; implicit-def: $vgpr12
	s_and_saveexec_b32 s17, s2
	s_cbranch_execz .LBB0_16
; %bb.15:
	v_add_nc_u32_e32 v0, 64, v3
	ds_load_b64 v[64:65], v4
	ds_load_2addr_stride64_b64 v[1:4], v0 offset0:13 offset1:20
	ds_load_2addr_stride64_b64 v[5:8], v0 offset0:27 offset1:34
	;; [unrolled: 1-line block ×3, first 2 shown]
.LBB0_16:
	s_wait_alu 0xfffe
	s_or_b32 exec_lo, exec_lo, s17
	v_and_b32_e32 v114, 31, v63
	v_mul_u32_u24_e32 v37, 6, v106
	v_and_b32_e32 v126, 31, v107
	v_mul_lo_u32 v70, v61, v106
	v_or_b32_e32 v109, 32, v106
	v_mul_u32_u24_e32 v0, 6, v114
	s_load_b64 s[0:1], s[0:1], 0x8
	v_or_b32_e32 v122, 64, v126
	v_or_b32_e32 v110, 64, v106
	v_mul_lo_u32 v71, v61, v109
	v_lshlrev_b32_e32 v0, 3, v0
	v_or_b32_e32 v113, 0xc0, v106
	v_mul_lo_u32 v128, v61, v122
	v_mul_lo_u32 v72, v61, v110
	v_or_b32_e32 v112, 0x80, v106
	global_load_b128 v[53:56], v0, s[14:15] offset:272
	v_lshlrev_b32_e32 v57, 3, v37
	v_or_b32_e32 v111, 0xa0, v106
	v_mul_lo_u32 v85, v61, v113
	v_mul_lo_u32 v83, v61, v112
	v_mul_u32_u24_e32 v119, 6, v126
	v_mul_lo_u32 v121, v61, v126
	v_mul_lo_u32 v84, v61, v111
	s_and_not1_b32 vcc_lo, exec_lo, s3
	s_wait_loadcnt_dscnt 0x0
	v_mul_f32_e32 v122, v69, v56
	v_mul_f32_e32 v131, v33, v54
	s_clause 0x3
	global_load_b128 v[49:52], v57, s[14:15] offset:272
	global_load_b128 v[45:48], v0, s[14:15] offset:256
	;; [unrolled: 1-line block ×4, first 2 shown]
	v_and_b32_e32 v73, 0xff, v70
	v_lshrrev_b32_e32 v70, 5, v70
	v_mul_f32_e32 v129, v68, v56
	v_or_b32_e32 v0, 0x60, v106
	global_load_b128 v[57:60], v57, s[14:15] offset:240
	v_and_b32_e32 v74, 0xff, v71
	v_lshrrev_b32_e32 v71, 5, v71
	v_dual_fmac_f32 v129, v69, v55 :: v_dual_and_b32 v70, 0x7f8, v70
	v_fma_f32 v132, v68, v55, -v122
	v_mul_lo_u32 v82, v61, v0
	v_mul_lo_u32 v86, v61, v114
	v_and_b32_e32 v75, 0xff, v72
	v_lshrrev_b32_e32 v72, 5, v72
	v_and_b32_e32 v77, 0x7f8, v71
	v_and_b32_e32 v90, 0xff, v85
	v_lshrrev_b32_e32 v85, 5, v85
	v_and_b32_e32 v88, 0xff, v83
	v_and_b32_e32 v81, 0x7f8, v72
	v_lshrrev_b32_e32 v83, 5, v83
	v_lshrrev_b32_e32 v92, 5, v86
	v_and_b32_e32 v97, 0x7f8, v85
	v_lshlrev_b32_e32 v119, 3, v119
	v_or_b32_e32 v115, 64, v114
	v_or_b32_e32 v116, 0x60, v114
	;; [unrolled: 1-line block ×4, first 2 shown]
	v_mul_f32_e32 v56, v34, v54
	v_fmac_f32_e32 v131, v34, v53
	v_mul_lo_u32 v115, v61, v115
	v_mul_lo_u32 v116, v61, v116
	;; [unrolled: 1-line block ×4, first 2 shown]
	v_fma_f32 v133, v33, v53, -v56
	v_lshrrev_b32_e32 v53, 5, v121
	s_delay_alu instid0(VALU_DEP_1) | instskip(NEXT) | instid1(VALU_DEP_4)
	v_and_b32_e32 v53, 0x7f8, v53
	v_lshrrev_b32_e32 v68, 5, v118
	s_wait_loadcnt 0x4
	v_mul_f32_e32 v55, v52, v36
	v_dual_mul_f32 v52, v52, v35 :: v_dual_lshlrev_b32 v73, 3, v73
	v_mul_f32_e32 v56, v50, v32
	v_mul_f32_e32 v50, v50, v31
	v_lshlrev_b32_e32 v76, 3, v74
	v_lshlrev_b32_e32 v80, 3, v75
	v_dual_fmac_f32 v52, v51, v36 :: v_dual_and_b32 v87, 0xff, v82
	s_delay_alu instid0(VALU_DEP_4)
	v_dual_fmac_f32 v50, v49, v32 :: v_dual_and_b32 v91, 0xff, v86
	v_fma_f32 v134, v51, v35, -v55
	v_fma_f32 v51, v49, v31, -v56
	s_wait_loadcnt 0x3
	v_mul_f32_e32 v31, v30, v48
	v_mul_f32_e32 v32, v26, v46
	s_wait_kmcnt 0x0
	s_clause 0x5
	global_load_b64 v[72:73], v73, s[0:1]
	global_load_b64 v[74:75], v70, s[0:1] offset:2048
	global_load_b64 v[70:71], v76, s[0:1]
	global_load_b64 v[78:79], v77, s[0:1] offset:2048
	;; [unrolled: 2-line block ×3, first 2 shown]
	v_lshrrev_b32_e32 v82, 5, v82
	v_mul_f32_e32 v48, v29, v48
	v_and_b32_e32 v89, 0xff, v84
	s_wait_loadcnt 0x8
	v_mul_f32_e32 v137, v44, v27
	v_lshrrev_b32_e32 v84, 5, v84
	v_and_b32_e32 v82, 0x7f8, v82
	v_dual_mul_f32 v49, v44, v28 :: v_dual_and_b32 v94, 0x7f8, v83
	s_delay_alu instid0(VALU_DEP_4)
	v_fmac_f32_e32 v137, v43, v28
	v_lshlrev_b32_e32 v93, 3, v88
	v_dual_mul_f32 v135, v25, v46 :: v_dual_lshlrev_b32 v86, 3, v87
	v_dual_fmac_f32 v48, v30, v47 :: v_dual_lshlrev_b32 v95, 3, v89
	v_mul_f32_e32 v28, v42, v24
	v_mul_f32_e32 v42, v42, v23
	s_wait_loadcnt 0x7
	v_dual_mul_f32 v69, v38, v18 :: v_dual_and_b32 v96, 0x7f8, v84
	v_lshlrev_b32_e32 v90, 3, v90
	s_delay_alu instid0(VALU_DEP_3)
	v_dual_fmac_f32 v42, v41, v24 :: v_dual_lshlrev_b32 v91, 3, v91
	v_dual_fmac_f32 v135, v26, v45 :: v_dual_and_b32 v92, 0x7f8, v92
	s_clause 0x9
	global_load_b64 v[86:87], v86, s[0:1]
	global_load_b64 v[88:89], v82, s[0:1] offset:2048
	global_load_b64 v[82:83], v93, s[0:1]
	global_load_b64 v[84:85], v94, s[0:1] offset:2048
	;; [unrolled: 2-line block ×5, first 2 shown]
	v_or_b32_e32 v90, 32, v114
	v_fma_f32 v23, v41, v23, -v28
	v_mul_f32_e32 v28, v40, v22
	v_mul_f32_e32 v40, v40, v21
	v_and_b32_e32 v54, 0xff, v121
	v_mul_lo_u32 v90, v61, v90
	v_fma_f32 v26, v43, v27, -v49
	v_dual_mul_f32 v38, v38, v17 :: v_dual_and_b32 v27, 0xff, v115
	v_fmac_f32_e32 v40, v39, v22
	v_lshrrev_b32_e32 v43, 5, v115
	v_and_b32_e32 v49, 0xff, v116
	v_lshrrev_b32_e32 v41, 5, v117
	v_fmac_f32_e32 v38, v37, v18
	v_and_b32_e32 v91, 0xff, v90
	v_lshrrev_b32_e32 v90, 5, v90
	v_lshlrev_b32_e32 v138, 3, v54
	v_fma_f32 v17, v37, v17, -v69
	v_and_b32_e32 v37, 0xff, v128
	v_lshlrev_b32_e32 v91, 3, v91
	v_and_b32_e32 v92, 0x7f8, v90
	s_clause 0x1
	global_load_b64 v[90:91], v91, s[0:1]
	global_load_b64 v[92:93], v92, s[0:1] offset:2048
	s_wait_loadcnt 0x12
	v_mul_f32_e32 v54, v60, v20
	v_mul_f32_e32 v60, v60, v19
	v_lshrrev_b32_e32 v55, 5, v116
	v_and_b32_e32 v41, 0x7f8, v41
	global_load_b128 v[33:36], v119, s[14:15] offset:272
	v_fma_f32 v19, v59, v19, -v54
	v_fmac_f32_e32 v60, v59, v20
	v_and_b32_e32 v56, 0xff, v118
	v_lshlrev_b32_e32 v18, 3, v27
	v_and_b32_e32 v27, 0x7f8, v43
	v_dual_mul_f32 v20, v58, v15 :: v_dual_lshlrev_b32 v43, 3, v49
	v_fma_f32 v136, v29, v47, -v31
	v_fma_f32 v25, v25, v45, -v32
	s_clause 0x1
	global_load_b128 v[29:32], v119, s[14:15] offset:256
	global_load_b128 v[44:47], v119, s[14:15] offset:240
	v_dual_fmac_f32 v20, v57, v16 :: v_dual_and_b32 v49, 0x7f8, v55
	v_lshlrev_b32_e32 v118, 3, v56
	v_mul_f32_e32 v56, v58, v16
	s_clause 0x1
	global_load_b64 v[54:55], v18, s[0:1]
	global_load_b64 v[58:59], v27, s[0:1] offset:2048
	v_or_b32_e32 v114, 0xc0, v114
	v_and_b32_e32 v24, 0xff, v117
	v_fma_f32 v21, v39, v21, -v28
	v_fma_f32 v15, v57, v15, -v56
	s_delay_alu instid0(VALU_DEP_4) | instskip(NEXT) | instid1(VALU_DEP_4)
	v_mul_lo_u32 v114, v61, v114
	v_lshlrev_b32_e32 v24, 3, v24
	s_delay_alu instid0(VALU_DEP_2) | instskip(SKIP_1) | instid1(VALU_DEP_1)
	v_and_b32_e32 v22, 0xff, v114
	v_lshrrev_b32_e32 v28, 5, v114
	v_and_b32_e32 v28, 0x7f8, v28
	s_wait_loadcnt 0x15
	v_mul_f32_e32 v16, v73, v75
	v_mul_f32_e32 v18, v72, v75
	s_wait_loadcnt 0x13
	v_mul_f32_e32 v75, v70, v79
	v_mul_f32_e32 v27, v71, v79
	s_wait_loadcnt 0x11
	v_mul_f32_e32 v79, v77, v81
	v_fma_f32 v16, v72, v74, -v16
	v_fmac_f32_e32 v18, v73, v74
	v_fmac_f32_e32 v75, v71, v78
	v_or_b32_e32 v120, 32, v126
	v_or_b32_e32 v123, 0x60, v126
	v_fma_f32 v27, v70, v78, -v27
	v_or_b32_e32 v127, 0x80, v126
	v_mul_f32_e32 v72, v76, v81
	v_mul_lo_u32 v120, v61, v120
	v_mul_lo_u32 v130, v61, v123
	s_delay_alu instid0(VALU_DEP_3) | instskip(NEXT) | instid1(VALU_DEP_3)
	v_fmac_f32_e32 v72, v77, v80
	v_and_b32_e32 v39, 0xff, v120
	v_lshrrev_b32_e32 v114, 5, v120
	v_and_b32_e32 v120, 0x7f8, v68
	s_delay_alu instid0(VALU_DEP_3) | instskip(NEXT) | instid1(VALU_DEP_3)
	v_lshlrev_b32_e32 v39, 3, v39
	v_and_b32_e32 v139, 0x7f8, v114
	s_clause 0x3
	global_load_b64 v[56:57], v43, s[0:1]
	global_load_b64 v[68:69], v49, s[0:1] offset:2048
	global_load_b64 v[114:115], v24, s[0:1]
	global_load_b64 v[116:117], v41, s[0:1] offset:2048
	v_add_f32_e32 v43, v60, v50
	v_sub_f32_e32 v49, v60, v50
	v_dual_add_f32 v50, v23, v26 :: v_dual_sub_f32 v23, v26, v23
	s_wait_loadcnt 0x13
	v_mul_f32_e32 v26, v87, v89
	v_mul_f32_e32 v60, v86, v89
	s_wait_loadcnt 0x11
	v_dual_mul_f32 v71, v82, v85 :: v_dual_lshlrev_b32 v22, 3, v22
	v_fma_f32 v24, v76, v80, -v79
	v_add_f32_e32 v41, v19, v51
	v_sub_f32_e32 v19, v19, v51
	s_delay_alu instid0(VALU_DEP_4)
	v_fmac_f32_e32 v71, v83, v84
	v_dual_add_f32 v51, v42, v137 :: v_dual_sub_f32 v42, v137, v42
	v_fmac_f32_e32 v60, v87, v88
	s_wait_loadcnt 0xd
	v_mul_f32_e32 v73, v99, v101
	s_wait_loadcnt 0xb
	v_mul_f32_e32 v79, v94, v97
	s_clause 0x3
	global_load_b64 v[118:119], v118, s[0:1]
	global_load_b64 v[120:121], v120, s[0:1] offset:2048
	global_load_b64 v[122:123], v22, s[0:1]
	global_load_b64 v[124:125], v28, s[0:1] offset:2048
	v_add_f32_e32 v28, v20, v52
	v_sub_f32_e32 v20, v20, v52
	v_dual_mul_f32 v52, v83, v85 :: v_dual_add_f32 v83, v17, v132
	v_sub_f32_e32 v17, v17, v132
	v_fma_f32 v70, v86, v88, -v26
	v_dual_add_f32 v88, v25, v136 :: v_dual_sub_f32 v25, v136, v25
	v_add_f32_e32 v22, v15, v134
	v_sub_f32_e32 v15, v15, v134
	v_fma_f32 v77, v82, v84, -v52
	v_mul_f32_e32 v78, v98, v101
	v_mul_f32_e32 v52, v95, v97
	v_fma_f32 v97, v98, v100, -v73
	v_dual_add_f32 v73, v42, v49 :: v_dual_add_f32 v74, v41, v22
	v_dual_mul_f32 v76, v102, v105 :: v_dual_add_f32 v89, v135, v48
	v_sub_f32_e32 v80, v41, v22
	v_dual_sub_f32 v22, v22, v50 :: v_dual_fmac_f32 v79, v95, v96
	v_sub_f32_e32 v41, v50, v41
	v_dual_add_f32 v85, v38, v129 :: v_dual_add_f32 v82, v23, v19
	v_mul_f32_e32 v26, v103, v105
	v_sub_f32_e32 v98, v23, v19
	v_sub_f32_e32 v23, v15, v23
	;; [unrolled: 1-line block ×3, first 2 shown]
	v_dual_fmac_f32 v78, v99, v100 :: v_dual_sub_f32 v99, v42, v49
	v_add_f32_e32 v50, v50, v74
	s_wait_loadcnt 0xd
	v_dual_fmac_f32 v76, v103, v104 :: v_dual_mul_f32 v95, v90, v93
	v_sub_f32_e32 v81, v43, v28
	v_add_f32_e32 v87, v40, v131
	v_add_f32_e32 v15, v82, v15
	v_fma_f32 v84, v102, v104, -v26
	v_add_f32_e32 v26, v43, v28
	v_sub_f32_e32 v43, v51, v43
	v_dual_sub_f32 v28, v28, v51 :: v_dual_add_f32 v13, v50, v13
	v_add_f32_e32 v86, v21, v133
	v_sub_f32_e32 v21, v21, v133
	v_dual_sub_f32 v38, v38, v129 :: v_dual_fmac_f32 v95, v91, v92
	v_sub_f32_e32 v40, v40, v131
	v_dual_sub_f32 v42, v20, v42 :: v_dual_sub_f32 v49, v49, v20
	v_mul_f32_e32 v22, 0x3f4a47b2, v22
	v_dual_mul_f32 v82, 0xbf08b237, v99 :: v_dual_add_f32 v99, v87, v85
	v_mul_f32_e32 v28, 0x3f4a47b2, v28
	v_dual_add_f32 v20, v73, v20 :: v_dual_mul_f32 v73, 0x3d64c772, v43
	v_fma_f32 v94, v94, v96, -v52
	v_mul_f32_e32 v52, v91, v93
	v_dual_add_f32 v91, v25, v21 :: v_dual_sub_f32 v48, v48, v135
	v_dual_sub_f32 v101, v25, v21 :: v_dual_add_f32 v26, v51, v26
	v_mul_f32_e32 v51, 0x3d64c772, v41
	v_dual_sub_f32 v25, v17, v25 :: v_dual_mul_f32 v74, 0xbf08b237, v98
	v_sub_f32_e32 v21, v21, v17
	v_add_f32_e32 v17, v91, v17
	v_fmamk_f32 v41, v41, 0x3d64c772, v22
	v_fma_f32 v90, v90, v92, -v52
	v_sub_f32_e32 v52, v87, v85
	v_sub_f32_e32 v85, v85, v89
	v_mul_f32_e32 v93, 0x3f5ff5aa, v19
	v_sub_f32_e32 v87, v89, v87
	v_fmamk_f32 v43, v43, 0x3d64c772, v28
	v_fma_f32 v73, 0x3f3bfb3b, v81, -v73
	v_fma_f32 v28, 0xbf3bfb3b, v81, -v28
	v_dual_add_f32 v89, v89, v99 :: v_dual_sub_f32 v102, v48, v40
	v_mul_f32_e32 v81, 0x3f4a47b2, v85
	v_mul_f32_e32 v85, 0xbf08b237, v101
	v_fma_f32 v19, 0x3f5ff5aa, v19, -v74
	s_delay_alu instid0(VALU_DEP_4)
	v_dual_add_f32 v67, v89, v67 :: v_dual_add_f32 v92, v48, v40
	v_sub_f32_e32 v40, v40, v38
	v_mul_f32_e32 v96, 0x3f5ff5aa, v49
	v_fma_f32 v49, 0x3f5ff5aa, v49, -v82
	v_dual_add_f32 v98, v86, v83 :: v_dual_fmamk_f32 v103, v23, 0x3eae86e6, v74
	v_dual_sub_f32 v100, v86, v83 :: v_dual_mul_f32 v91, 0x3f5ff5aa, v21
	v_dual_sub_f32 v83, v83, v88 :: v_dual_sub_f32 v86, v88, v86
	s_delay_alu instid0(VALU_DEP_3)
	v_fmac_f32_e32 v103, 0x3ee1c552, v15
	v_fma_f32 v23, 0xbeae86e6, v23, -v93
	v_add_f32_e32 v14, v26, v14
	v_dual_fmamk_f32 v82, v42, 0x3eae86e6, v82 :: v_dual_fmamk_f32 v101, v25, 0x3eae86e6, v85
	v_fmac_f32_e32 v49, 0x3ee1c552, v20
	v_mul_f32_e32 v93, 0x3f5ff5aa, v40
	v_fma_f32 v42, 0xbeae86e6, v42, -v96
	v_sub_f32_e32 v48, v38, v48
	v_fma_f32 v51, 0x3f3bfb3b, v80, -v51
	v_fma_f32 v22, 0xbf3bfb3b, v80, -v22
	v_add_f32_e32 v88, v88, v98
	v_mul_f32_e32 v74, 0x3f4a47b2, v83
	v_mul_f32_e32 v83, 0x3d64c772, v87
	v_fmac_f32_e32 v19, 0x3ee1c552, v15
	v_dual_fmac_f32 v23, 0x3ee1c552, v15 :: v_dual_fmac_f32 v82, 0x3ee1c552, v20
	v_fmac_f32_e32 v101, 0x3ee1c552, v17
	v_fmamk_f32 v87, v87, 0x3d64c772, v81
	v_fma_f32 v99, 0xbf3bfb3b, v52, -v81
	v_fma_f32 v91, 0xbeae86e6, v25, -v91
	v_fmac_f32_e32 v42, 0x3ee1c552, v20
	v_dual_fmamk_f32 v15, v50, 0xbf955555, v13 :: v_dual_add_f32 v38, v92, v38
	v_fmamk_f32 v20, v26, 0xbf955555, v14
	v_mul_f32_e32 v80, 0x3d64c772, v86
	v_mul_f32_e32 v81, v13, v18
	;; [unrolled: 1-line block ×3, first 2 shown]
	v_fma_f32 v98, 0xbf3bfb3b, v100, -v74
	v_fma_f32 v93, 0xbeae86e6, v48, -v93
	v_add_f32_e32 v43, v43, v20
	v_fmac_f32_e32 v81, v14, v16
	v_fma_f32 v96, 0x3f3bfb3b, v100, -v80
	v_fma_f32 v100, 0x3f5ff5aa, v21, -v85
	;; [unrolled: 1-line block ×3, first 2 shown]
	v_dual_mul_f32 v21, v14, v18 :: v_dual_add_f32 v102, v41, v15
	v_add_f32_e32 v18, v51, v15
	v_add_f32_e32 v15, v22, v15
	v_dual_fmac_f32 v93, 0x3ee1c552, v38 :: v_dual_add_f32 v22, v73, v20
	v_fmac_f32_e32 v91, 0x3ee1c552, v17
	v_fmac_f32_e32 v85, 0x3ee1c552, v38
	v_fmamk_f32 v92, v48, 0x3eae86e6, v92
	v_fma_f32 v80, v13, v16, -v21
	v_dual_add_f32 v13, v82, v102 :: v_dual_fmac_f32 v100, 0x3ee1c552, v17
	s_delay_alu instid0(VALU_DEP_3) | instskip(SKIP_2) | instid1(VALU_DEP_3)
	v_dual_add_f32 v17, v42, v15 :: v_dual_fmac_f32 v92, 0x3ee1c552, v38
	v_dual_add_f32 v129, v19, v22 :: v_dual_fmamk_f32 v86, v86, 0x3d64c772, v74
	v_add_f32_e32 v105, v49, v18
	v_dual_mul_f32 v73, v17, v72 :: v_dual_sub_f32 v14, v43, v103
	v_add_f32_e32 v20, v28, v20
	v_sub_f32_e32 v132, v15, v42
	v_dual_add_f32 v66, v88, v66 :: v_dual_sub_f32 v131, v22, v19
	s_delay_alu instid0(VALU_DEP_4) | instskip(SKIP_3) | instid1(VALU_DEP_4)
	v_mul_f32_e32 v15, v14, v75
	v_mul_f32_e32 v75, v13, v75
	v_or_b32_e32 v22, 0xa0, v126
	v_dual_sub_f32 v104, v18, v49 :: v_dual_add_f32 v133, v23, v20
	v_fma_f32 v74, v13, v27, -v15
	v_lshrrev_b32_e32 v13, 5, v128
	v_sub_f32_e32 v16, v20, v23
	v_or_b32_e32 v23, 0xc0, v126
	v_mul_lo_u32 v15, v61, v127
	v_lshrrev_b32_e32 v21, 5, v130
	s_delay_alu instid0(VALU_DEP_4)
	v_dual_mul_f32 v18, v16, v72 :: v_dual_and_b32 v13, 0x7f8, v13
	v_dual_fmac_f32 v73, v16, v24 :: v_dual_and_b32 v16, 0xff, v130
	v_add_f32_e32 v43, v103, v43
	v_mul_lo_u32 v22, v61, v22
	v_dual_fmac_f32 v75, v14, v27 :: v_dual_lshlrev_b32 v14, 3, v37
	v_fmamk_f32 v89, v89, 0xbf955555, v67
	v_mul_lo_u32 v23, v61, v23
	v_fma_f32 v83, 0x3f3bfb3b, v52, -v83
	v_lshlrev_b32_e32 v16, 3, v16
	v_and_b32_e32 v21, 0x7f8, v21
	v_fma_f32 v72, v17, v24, -v18
	v_fmamk_f32 v88, v88, 0xbf955555, v66
	v_and_b32_e32 v24, 0xff, v15
	s_clause 0x7
	global_load_b64 v[25:26], v138, s[0:1]
	global_load_b64 v[27:28], v53, s[0:1] offset:2048
	global_load_b64 v[17:18], v39, s[0:1]
	global_load_b64 v[19:20], v139, s[0:1] offset:2048
	;; [unrolled: 2-line block ×4, first 2 shown]
	v_lshrrev_b32_e32 v14, 5, v15
	v_add_f32_e32 v103, v86, v88
	v_and_b32_e32 v15, 0xff, v22
	v_lshrrev_b32_e32 v16, 5, v22
	v_dual_add_f32 v96, v96, v88 :: v_dual_and_b32 v21, 0xff, v23
	v_dual_sub_f32 v102, v102, v82 :: v_dual_lshlrev_b32 v13, 3, v24
	v_lshrrev_b32_e32 v22, 5, v23
	v_and_b32_e32 v14, 0x7f8, v14
	v_dual_mul_f32 v82, v129, v60 :: v_dual_lshlrev_b32 v15, 3, v15
	v_dual_add_f32 v99, v99, v89 :: v_dual_and_b32 v16, 0x7f8, v16
	v_lshlrev_b32_e32 v126, 3, v21
	v_dual_add_f32 v98, v98, v88 :: v_dual_and_b32 v127, 0x7f8, v22
	s_clause 0x5
	global_load_b64 v[41:42], v13, s[0:1]
	global_load_b64 v[48:49], v14, s[0:1] offset:2048
	global_load_b64 v[21:22], v15, s[0:1]
	global_load_b64 v[23:24], v16, s[0:1] offset:2048
	;; [unrolled: 2-line block ×3, first 2 shown]
	v_add_f32_e32 v126, v87, v89
	v_add_f32_e32 v127, v83, v89
	v_dual_mul_f32 v87, v104, v60 :: v_dual_mul_f32 v60, v131, v71
	v_mul_f32_e32 v83, v132, v76
	v_mul_f32_e32 v89, v105, v71
	v_fma_f32 v86, v104, v70, -v82
	v_sub_f32_e32 v104, v96, v85
	v_fma_f32 v88, v105, v77, -v60
	s_delay_alu instid0(VALU_DEP_4) | instskip(SKIP_3) | instid1(VALU_DEP_4)
	v_dual_mul_f32 v60, v133, v76 :: v_dual_fmac_f32 v89, v131, v77
	v_mul_f32_e32 v77, v66, v79
	v_dual_add_f32 v105, v100, v127 :: v_dual_add_f32 v96, v85, v96
	v_dual_mul_f32 v85, v102, v78 :: v_dual_sub_f32 v100, v127, v100
	v_fma_f32 v82, v132, v84, -v60
	v_dual_add_f32 v60, v92, v103 :: v_dual_mul_f32 v71, v43, v78
	v_sub_f32_e32 v127, v126, v101
	s_delay_alu instid0(VALU_DEP_4)
	v_fmac_f32_e32 v85, v43, v97
	s_wait_loadcnt 0x16
	v_mul_f32_e32 v43, v54, v59
	v_dual_fmac_f32 v87, v129, v70 :: v_dual_mul_f32 v70, v67, v79
	v_fmac_f32_e32 v83, v133, v84
	v_fma_f32 v84, v102, v97, -v71
	v_dual_add_f32 v102, v93, v98 :: v_dual_sub_f32 v97, v99, v91
	v_mul_f32_e32 v71, v127, v95
	v_mul_f32_e32 v59, v55, v59
	v_fmac_f32_e32 v43, v55, v58
	v_mul_f32_e32 v79, v60, v95
	v_fma_f32 v76, v66, v94, -v70
	v_fma_f32 v78, v60, v90, -v71
	;; [unrolled: 1-line block ×3, first 2 shown]
	v_dual_mul_f32 v71, v102, v43 :: v_dual_sub_f32 v92, v103, v92
	s_wait_loadcnt 0x14
	v_mul_f32_e32 v58, v56, v69
	s_wait_loadcnt 0x12
	v_dual_mul_f32 v60, v114, v117 :: v_dual_mul_f32 v55, v97, v43
	v_mul_f32_e32 v43, v57, v69
	s_delay_alu instid0(VALU_DEP_3) | instskip(NEXT) | instid1(VALU_DEP_3)
	v_fmac_f32_e32 v58, v57, v68
	v_fmac_f32_e32 v60, v115, v116
	s_delay_alu instid0(VALU_DEP_4) | instskip(NEXT) | instid1(VALU_DEP_4)
	v_fma_f32 v70, v102, v54, -v55
	v_fma_f32 v43, v56, v68, -v43
	s_delay_alu instid0(VALU_DEP_4) | instskip(SKIP_3) | instid1(VALU_DEP_4)
	v_mul_f32_e32 v55, v105, v58
	v_mul_f32_e32 v59, v104, v58
	;; [unrolled: 1-line block ×3, first 2 shown]
	v_dual_mul_f32 v57, v96, v60 :: v_dual_add_f32 v60, v91, v99
	v_fma_f32 v58, v104, v43, -v55
	s_delay_alu instid0(VALU_DEP_4)
	v_dual_fmac_f32 v59, v105, v43 :: v_dual_sub_f32 v68, v98, v93
	s_wait_loadcnt 0x10
	v_mul_f32_e32 v55, v118, v121
	v_mul_f32_e32 v43, v119, v121
	s_wait_loadcnt 0xe
	v_dual_mul_f32 v66, v123, v125 :: v_dual_fmac_f32 v71, v97, v54
	v_mul_f32_e32 v54, v115, v117
	v_fmac_f32_e32 v55, v119, v120
	v_add_f32_e32 v91, v101, v126
	v_fmac_f32_e32 v77, v67, v94
	v_fmac_f32_e32 v79, v127, v90
	v_fma_f32 v54, v114, v116, -v54
	v_mul_f32_e32 v90, v60, v55
	v_fma_f32 v43, v118, v120, -v43
	v_fma_f32 v93, v122, v124, -v66
	v_mul_f32_e32 v67, v68, v55
	v_fma_f32 v56, v96, v54, -v56
	v_dual_fmac_f32 v57, v100, v54 :: v_dual_mul_f32 v54, v122, v125
	v_fma_f32 v66, v68, v43, -v90
	s_delay_alu instid0(VALU_DEP_2) | instskip(NEXT) | instid1(VALU_DEP_1)
	v_dual_fmac_f32 v67, v60, v43 :: v_dual_fmac_f32 v54, v123, v124
	v_mul_f32_e32 v55, v91, v54
	v_mul_f32_e32 v69, v92, v54
	s_delay_alu instid0(VALU_DEP_2) | instskip(NEXT) | instid1(VALU_DEP_2)
	v_fma_f32 v68, v92, v93, -v55
	v_fmac_f32_e32 v69, v91, v93
	s_wait_alu 0xfffe
	s_cbranch_vccnz .LBB0_18
; %bb.17:
	v_mad_co_u64_u32 v[54:55], null, s6, v108, 0
	v_mad_co_u64_u32 v[90:91], null, s4, v106, 0
	;; [unrolled: 1-line block ×4, first 2 shown]
	s_delay_alu instid0(VALU_DEP_4) | instskip(SKIP_1) | instid1(VALU_DEP_4)
	v_mov_b32_e32 v43, v55
	s_lshl_b64 s[0:1], s[10:11], 3
	v_mov_b32_e32 v55, v91
	s_add_nc_u64 s[0:1], s[8:9], s[0:1]
	s_delay_alu instid0(VALU_DEP_4) | instskip(SKIP_1) | instid1(VALU_DEP_3)
	v_mov_b32_e32 v60, v95
	v_mad_co_u64_u32 v[96:97], null, s7, v108, v[43:44]
	v_mad_co_u64_u32 v[97:98], null, s5, v106, v[55:56]
	v_mov_b32_e32 v43, v93
	v_mad_co_u64_u32 v[98:99], null, s4, v0, 0
	s_and_b32 s16, s2, exec_lo
	s_delay_alu instid0(VALU_DEP_4) | instskip(NEXT) | instid1(VALU_DEP_3)
	v_mov_b32_e32 v55, v96
	v_mad_co_u64_u32 v[95:96], null, s5, v109, v[43:44]
	v_mov_b32_e32 v91, v97
	v_mad_co_u64_u32 v[96:97], null, s5, v110, v[60:61]
	s_delay_alu instid0(VALU_DEP_4) | instskip(SKIP_1) | instid1(VALU_DEP_4)
	v_lshlrev_b64_e32 v[54:55], 3, v[54:55]
	v_mov_b32_e32 v43, v99
	v_lshlrev_b64_e32 v[90:91], 3, v[90:91]
	v_mov_b32_e32 v93, v95
	v_lshrrev_b32_e32 v60, 5, v63
	v_add_co_u32 v54, vcc_lo, s0, v54
	s_wait_alu 0xfffd
	v_add_co_ci_u32_e32 v55, vcc_lo, s1, v55, vcc_lo
	v_mov_b32_e32 v95, v96
	s_delay_alu instid0(VALU_DEP_3) | instskip(SKIP_1) | instid1(VALU_DEP_3)
	v_add_co_u32 v90, vcc_lo, v54, v90
	s_wait_alu 0xfffd
	v_add_co_ci_u32_e32 v91, vcc_lo, v55, v91, vcc_lo
	v_lshlrev_b64_e32 v[92:93], 3, v[92:93]
	v_lshlrev_b64_e32 v[94:95], 3, v[94:95]
	v_mad_co_u64_u32 v[96:97], null, s5, v0, v[43:44]
	global_store_b64 v[90:91], v[80:81], off
	v_mad_co_u64_u32 v[90:91], null, s4, v112, 0
	v_add_co_u32 v92, vcc_lo, v54, v92
	s_wait_alu 0xfffd
	v_add_co_ci_u32_e32 v93, vcc_lo, v55, v93, vcc_lo
	v_add_co_u32 v94, vcc_lo, v54, v94
	s_delay_alu instid0(VALU_DEP_4)
	v_mov_b32_e32 v43, v91
	s_wait_alu 0xfffd
	v_add_co_ci_u32_e32 v95, vcc_lo, v55, v95, vcc_lo
	s_clause 0x1
	global_store_b64 v[92:93], v[74:75], off
	global_store_b64 v[94:95], v[72:73], off
	v_mad_co_u64_u32 v[100:101], null, s5, v112, v[43:44]
	v_mad_co_u64_u32 v[101:102], null, s4, v111, 0
	v_mad_co_u64_u32 v[94:95], null, s4, v113, 0
	v_mov_b32_e32 v99, v96
	s_delay_alu instid0(VALU_DEP_4) | instskip(NEXT) | instid1(VALU_DEP_4)
	v_mov_b32_e32 v91, v100
	v_mov_b32_e32 v43, v102
	s_delay_alu instid0(VALU_DEP_3) | instskip(NEXT) | instid1(VALU_DEP_3)
	v_lshlrev_b64_e32 v[92:93], 3, v[98:99]
	v_lshlrev_b64_e32 v[90:91], 3, v[90:91]
	s_delay_alu instid0(VALU_DEP_3) | instskip(SKIP_1) | instid1(VALU_DEP_4)
	v_mad_co_u64_u32 v[96:97], null, s5, v111, v[43:44]
	v_mov_b32_e32 v43, v95
	v_add_co_u32 v92, vcc_lo, v54, v92
	s_wait_alu 0xfffd
	v_add_co_ci_u32_e32 v93, vcc_lo, v55, v93, vcc_lo
	s_delay_alu instid0(VALU_DEP_3)
	v_mad_co_u64_u32 v[97:98], null, s5, v113, v[43:44]
	v_mad_co_u64_u32 v[98:99], null, 0xc0, v60, v[63:64]
	v_add_co_u32 v90, vcc_lo, v54, v90
	v_mov_b32_e32 v102, v96
	s_wait_alu 0xfffd
	v_add_co_ci_u32_e32 v91, vcc_lo, v55, v91, vcc_lo
	s_clause 0x1
	global_store_b64 v[92:93], v[86:87], off
	global_store_b64 v[90:91], v[88:89], off
	v_lshlrev_b64_e32 v[90:91], 3, v[101:102]
	v_add_nc_u32_e32 v102, 32, v98
	v_mad_co_u64_u32 v[92:93], null, s4, v98, 0
	v_dual_mov_b32 v95, v97 :: v_dual_add_nc_u32 v104, 64, v98
	s_delay_alu instid0(VALU_DEP_3) | instskip(SKIP_1) | instid1(VALU_DEP_4)
	v_mad_co_u64_u32 v[96:97], null, s4, v102, 0
	v_add_co_u32 v90, vcc_lo, v54, v90
	v_mov_b32_e32 v43, v93
	s_delay_alu instid0(VALU_DEP_4)
	v_lshlrev_b64_e32 v[94:95], 3, v[94:95]
	s_wait_alu 0xfffd
	v_add_co_ci_u32_e32 v91, vcc_lo, v55, v91, vcc_lo
	v_mov_b32_e32 v60, v97
	v_mad_co_u64_u32 v[99:100], null, s5, v98, v[43:44]
	v_mad_co_u64_u32 v[100:101], null, s4, v104, 0
	s_delay_alu instid0(VALU_DEP_3) | instskip(SKIP_1) | instid1(VALU_DEP_4)
	v_mad_co_u64_u32 v[102:103], null, s5, v102, v[60:61]
	v_add_co_u32 v94, vcc_lo, v54, v94
	v_mov_b32_e32 v93, v99
	s_wait_alu 0xfffd
	v_add_co_ci_u32_e32 v95, vcc_lo, v55, v95, vcc_lo
	v_mov_b32_e32 v43, v101
	v_mov_b32_e32 v97, v102
	global_store_b64 v[90:91], v[82:83], off
	v_lshlrev_b64_e32 v[90:91], 3, v[92:93]
	v_add_nc_u32_e32 v60, 0x60, v98
	v_mad_co_u64_u32 v[92:93], null, s5, v104, v[43:44]
	global_store_b64 v[94:95], v[84:85], off
	v_lshlrev_b64_e32 v[93:94], 3, v[96:97]
	v_add_co_u32 v90, vcc_lo, v54, v90
	v_mad_co_u64_u32 v[95:96], null, s4, v60, 0
	s_wait_alu 0xfffd
	v_add_co_ci_u32_e32 v91, vcc_lo, v55, v91, vcc_lo
	v_mov_b32_e32 v101, v92
	v_add_co_u32 v92, vcc_lo, v54, v93
	s_wait_alu 0xfffd
	v_add_co_ci_u32_e32 v93, vcc_lo, v55, v94, vcc_lo
	v_dual_mov_b32 v43, v96 :: v_dual_add_nc_u32 v94, 0x80, v98
	global_store_b64 v[90:91], v[76:77], off
	v_lshlrev_b64_e32 v[90:91], 3, v[100:101]
	global_store_b64 v[92:93], v[78:79], off
	v_mad_co_u64_u32 v[92:93], null, s4, v94, 0
	v_add_nc_u32_e32 v101, 0xa0, v98
	v_add_nc_u32_e32 v102, 0xc0, v98
	v_mad_co_u64_u32 v[96:97], null, s5, v60, v[43:44]
	v_add_co_u32 v90, vcc_lo, v54, v90
	s_delay_alu instid0(VALU_DEP_4) | instskip(SKIP_4) | instid1(VALU_DEP_3)
	v_mad_co_u64_u32 v[97:98], null, s4, v101, 0
	v_mov_b32_e32 v43, v93
	v_mad_co_u64_u32 v[99:100], null, s4, v102, 0
	s_wait_alu 0xfffd
	v_add_co_ci_u32_e32 v91, vcc_lo, v55, v91, vcc_lo
	v_mad_co_u64_u32 v[93:94], null, s5, v94, v[43:44]
	v_mov_b32_e32 v43, v98
	global_store_b64 v[90:91], v[70:71], off
	v_mov_b32_e32 v60, v100
	v_lshlrev_b64_e32 v[90:91], 3, v[95:96]
	v_mad_co_u64_u32 v[94:95], null, s5, v101, v[43:44]
	v_lshlrev_b64_e32 v[92:93], 3, v[92:93]
	s_delay_alu instid0(VALU_DEP_4) | instskip(NEXT) | instid1(VALU_DEP_4)
	v_mad_co_u64_u32 v[95:96], null, s5, v102, v[60:61]
	v_add_co_u32 v90, vcc_lo, v54, v90
	s_wait_alu 0xfffd
	v_add_co_ci_u32_e32 v91, vcc_lo, v55, v91, vcc_lo
	v_mov_b32_e32 v98, v94
	v_add_co_u32 v92, vcc_lo, v54, v92
	v_mov_b32_e32 v100, v95
	s_wait_alu 0xfffd
	v_add_co_ci_u32_e32 v93, vcc_lo, v55, v93, vcc_lo
	global_store_b64 v[90:91], v[58:59], off
	v_lshlrev_b64_e32 v[90:91], 3, v[97:98]
	global_store_b64 v[92:93], v[56:57], off
	v_lshlrev_b64_e32 v[92:93], 3, v[99:100]
	v_add_co_u32 v90, vcc_lo, v54, v90
	s_wait_alu 0xfffd
	v_add_co_ci_u32_e32 v91, vcc_lo, v55, v91, vcc_lo
	s_delay_alu instid0(VALU_DEP_3)
	v_add_co_u32 v92, vcc_lo, v54, v92
	s_wait_alu 0xfffd
	v_add_co_ci_u32_e32 v93, vcc_lo, v55, v93, vcc_lo
	s_clause 0x1
	global_store_b64 v[90:91], v[66:67], off
	global_store_b64 v[92:93], v[68:69], off
	s_cbranch_execz .LBB0_19
	s_branch .LBB0_22
.LBB0_18:
                                        ; implicit-def: $vgpr54_vgpr55
.LBB0_19:
	s_mov_b32 s0, exec_lo
                                        ; implicit-def: $vgpr54_vgpr55
	v_cmpx_gt_u64_e64 s[12:13], v[61:62]
	s_cbranch_execz .LBB0_21
; %bb.20:
	v_mad_co_u64_u32 v[54:55], null, s6, v108, 0
	v_mad_co_u64_u32 v[60:61], null, s4, v106, 0
	;; [unrolled: 1-line block ×4, first 2 shown]
	s_delay_alu instid0(VALU_DEP_4) | instskip(SKIP_2) | instid1(VALU_DEP_4)
	v_mov_b32_e32 v43, v55
	s_wait_alu 0xfffe
	s_and_not1_b32 s1, s16, exec_lo
	v_mov_b32_e32 v55, v61
	s_and_b32 s2, s2, exec_lo
	s_wait_alu 0xfffe
	s_or_b32 s16, s1, s2
	v_mad_co_u64_u32 v[61:62], null, s7, v108, v[43:44]
	v_mad_co_u64_u32 v[94:95], null, s5, v106, v[55:56]
	v_mov_b32_e32 v43, v91
	s_lshl_b64 s[6:7], s[10:11], 3
	v_mov_b32_e32 v62, v93
	s_wait_alu 0xfffe
	s_add_nc_u64 s[6:7], s[8:9], s[6:7]
	s_delay_alu instid0(VALU_DEP_4) | instskip(SKIP_3) | instid1(VALU_DEP_4)
	v_mov_b32_e32 v55, v61
	v_mad_co_u64_u32 v[95:96], null, s5, v109, v[43:44]
	v_mov_b32_e32 v61, v94
	v_mad_co_u64_u32 v[96:97], null, s4, v0, 0
	v_lshlrev_b64_e32 v[54:55], 3, v[54:55]
	v_mad_co_u64_u32 v[93:94], null, s5, v110, v[62:63]
	s_delay_alu instid0(VALU_DEP_4) | instskip(SKIP_2) | instid1(VALU_DEP_4)
	v_lshlrev_b64_e32 v[60:61], 3, v[60:61]
	v_mov_b32_e32 v91, v95
	s_wait_alu 0xfffe
	v_add_co_u32 v54, vcc_lo, s6, v54
	s_wait_alu 0xfffd
	v_add_co_ci_u32_e32 v55, vcc_lo, s7, v55, vcc_lo
	v_lshlrev_b64_e32 v[90:91], 3, v[90:91]
	s_delay_alu instid0(VALU_DEP_3) | instskip(SKIP_1) | instid1(VALU_DEP_3)
	v_add_co_u32 v60, vcc_lo, v54, v60
	s_wait_alu 0xfffd
	v_add_co_ci_u32_e32 v61, vcc_lo, v55, v61, vcc_lo
	v_mov_b32_e32 v43, v97
	v_lshlrev_b64_e32 v[92:93], 3, v[92:93]
	global_store_b64 v[60:61], v[80:81], off
	v_mad_co_u64_u32 v[60:61], null, s4, v112, 0
	v_add_co_u32 v80, vcc_lo, v54, v90
	s_wait_alu 0xfffd
	v_add_co_ci_u32_e32 v81, vcc_lo, v55, v91, vcc_lo
	v_mad_co_u64_u32 v[90:91], null, s5, v0, v[43:44]
	s_delay_alu instid0(VALU_DEP_4)
	v_mov_b32_e32 v0, v61
	v_add_co_u32 v61, vcc_lo, v54, v92
	v_lshrrev_b32_e32 v43, 5, v63
	s_wait_alu 0xfffd
	v_add_co_ci_u32_e32 v62, vcc_lo, v55, v93, vcc_lo
	v_mad_co_u64_u32 v[91:92], null, s5, v112, v[0:1]
	s_clause 0x1
	global_store_b64 v[80:81], v[74:75], off
	global_store_b64 v[61:62], v[72:73], off
	v_mad_co_u64_u32 v[62:63], null, 0xc0, v43, v[63:64]
	v_mov_b32_e32 v97, v90
	v_mad_co_u64_u32 v[92:93], null, s4, v111, 0
	v_mov_b32_e32 v61, v91
	v_mad_co_u64_u32 v[74:75], null, s4, v113, 0
	s_delay_alu instid0(VALU_DEP_4) | instskip(SKIP_1) | instid1(VALU_DEP_4)
	v_lshlrev_b64_e32 v[72:73], 3, v[96:97]
	v_add_nc_u32_e32 v63, 32, v62
	v_lshlrev_b64_e32 v[60:61], 3, v[60:61]
	v_mov_b32_e32 v0, v93
	s_delay_alu instid0(VALU_DEP_4) | instskip(SKIP_2) | instid1(VALU_DEP_4)
	v_add_co_u32 v72, vcc_lo, v54, v72
	s_wait_alu 0xfffd
	v_add_co_ci_u32_e32 v73, vcc_lo, v55, v73, vcc_lo
	v_add_co_u32 v60, vcc_lo, v54, v60
	s_wait_alu 0xfffd
	v_add_co_ci_u32_e32 v61, vcc_lo, v55, v61, vcc_lo
	v_mad_co_u64_u32 v[80:81], null, s5, v111, v[0:1]
	v_mov_b32_e32 v0, v75
	s_clause 0x1
	global_store_b64 v[72:73], v[86:87], off
	global_store_b64 v[60:61], v[88:89], off
	v_mad_co_u64_u32 v[72:73], null, s4, v62, 0
	v_mad_co_u64_u32 v[90:91], null, s5, v113, v[0:1]
	v_mov_b32_e32 v93, v80
	v_mad_co_u64_u32 v[80:81], null, s4, v63, 0
	s_delay_alu instid0(VALU_DEP_4) | instskip(NEXT) | instid1(VALU_DEP_3)
	v_dual_mov_b32 v0, v73 :: v_dual_add_nc_u32 v91, 64, v62
	v_lshlrev_b64_e32 v[60:61], 3, v[92:93]
	v_mov_b32_e32 v75, v90
	s_delay_alu instid0(VALU_DEP_3) | instskip(SKIP_2) | instid1(VALU_DEP_4)
	v_mad_co_u64_u32 v[86:87], null, s5, v62, v[0:1]
	v_mov_b32_e32 v43, v81
	v_mad_co_u64_u32 v[87:88], null, s4, v91, 0
	v_lshlrev_b64_e32 v[74:75], 3, v[74:75]
	v_add_co_u32 v60, vcc_lo, v54, v60
	s_delay_alu instid0(VALU_DEP_4)
	v_mad_co_u64_u32 v[89:90], null, s5, v63, v[43:44]
	s_wait_alu 0xfffd
	v_add_co_ci_u32_e32 v61, vcc_lo, v55, v61, vcc_lo
	v_mov_b32_e32 v73, v86
	v_add_co_u32 v74, vcc_lo, v54, v74
	v_mov_b32_e32 v0, v88
	s_wait_alu 0xfffd
	v_add_co_ci_u32_e32 v75, vcc_lo, v55, v75, vcc_lo
	global_store_b64 v[60:61], v[82:83], off
	v_mov_b32_e32 v81, v89
	v_lshlrev_b64_e32 v[60:61], 3, v[72:73]
	v_mad_co_u64_u32 v[72:73], null, s5, v91, v[0:1]
	global_store_b64 v[74:75], v[84:85], off
	v_lshlrev_b64_e32 v[73:74], 3, v[80:81]
	v_add_nc_u32_e32 v43, 0x60, v62
	v_add_co_u32 v60, vcc_lo, v54, v60
	s_wait_alu 0xfffd
	v_add_co_ci_u32_e32 v61, vcc_lo, v55, v61, vcc_lo
	v_mov_b32_e32 v88, v72
	v_add_co_u32 v72, vcc_lo, v54, v73
	v_mad_co_u64_u32 v[80:81], null, s4, v43, 0
	s_wait_alu 0xfffd
	v_add_co_ci_u32_e32 v73, vcc_lo, v55, v74, vcc_lo
	global_store_b64 v[60:61], v[76:77], off
	v_add_nc_u32_e32 v76, 0x80, v62
	v_lshlrev_b64_e32 v[60:61], 3, v[87:88]
	global_store_b64 v[72:73], v[78:79], off
	v_mov_b32_e32 v0, v81
	v_add_nc_u32_e32 v78, 0xa0, v62
	v_mad_co_u64_u32 v[72:73], null, s4, v76, 0
	v_add_nc_u32_e32 v79, 0xc0, v62
	s_delay_alu instid0(VALU_DEP_4) | instskip(NEXT) | instid1(VALU_DEP_4)
	v_mad_co_u64_u32 v[74:75], null, s5, v43, v[0:1]
	v_mad_co_u64_u32 v[62:63], null, s4, v78, 0
	v_add_co_u32 v60, vcc_lo, v54, v60
	v_mov_b32_e32 v0, v73
	s_wait_alu 0xfffd
	v_add_co_ci_u32_e32 v61, vcc_lo, v55, v61, vcc_lo
	v_mov_b32_e32 v81, v74
	s_delay_alu instid0(VALU_DEP_3)
	v_mad_co_u64_u32 v[75:76], null, s5, v76, v[0:1]
	v_mad_co_u64_u32 v[76:77], null, s4, v79, 0
	v_mov_b32_e32 v0, v63
	global_store_b64 v[60:61], v[70:71], off
	v_lshlrev_b64_e32 v[60:61], 3, v[80:81]
	v_mov_b32_e32 v73, v75
	v_mad_co_u64_u32 v[70:71], null, s5, v78, v[0:1]
	v_mov_b32_e32 v43, v77
	s_delay_alu instid0(VALU_DEP_4) | instskip(NEXT) | instid1(VALU_DEP_4)
	v_add_co_u32 v60, vcc_lo, v54, v60
	v_lshlrev_b64_e32 v[71:72], 3, v[72:73]
	s_wait_alu 0xfffd
	v_add_co_ci_u32_e32 v61, vcc_lo, v55, v61, vcc_lo
	v_mad_co_u64_u32 v[73:74], null, s5, v79, v[43:44]
	v_mov_b32_e32 v63, v70
	s_delay_alu instid0(VALU_DEP_4)
	v_add_co_u32 v70, vcc_lo, v54, v71
	s_wait_alu 0xfffd
	v_add_co_ci_u32_e32 v71, vcc_lo, v55, v72, vcc_lo
	global_store_b64 v[60:61], v[58:59], off
	v_mov_b32_e32 v77, v73
	v_lshlrev_b64_e32 v[58:59], 3, v[62:63]
	global_store_b64 v[70:71], v[56:57], off
	v_lshlrev_b64_e32 v[56:57], 3, v[76:77]
	v_add_co_u32 v58, vcc_lo, v54, v58
	s_wait_alu 0xfffd
	v_add_co_ci_u32_e32 v59, vcc_lo, v55, v59, vcc_lo
	s_delay_alu instid0(VALU_DEP_3)
	v_add_co_u32 v56, vcc_lo, v54, v56
	s_wait_alu 0xfffd
	v_add_co_ci_u32_e32 v57, vcc_lo, v55, v57, vcc_lo
	s_clause 0x1
	global_store_b64 v[58:59], v[66:67], off
	global_store_b64 v[56:57], v[68:69], off
.LBB0_21:
	s_wait_alu 0xfffe
	s_or_b32 exec_lo, exec_lo, s0
.LBB0_22:
	s_wait_alu 0xfffe
	s_and_saveexec_b32 s0, s16
	s_cbranch_execnz .LBB0_24
; %bb.23:
	s_nop 0
	s_sendmsg sendmsg(MSG_DEALLOC_VGPRS)
	s_endpgm
.LBB0_24:
	v_mul_f32_e32 v0, v2, v45
	v_mul_f32_e32 v43, v1, v45
	;; [unrolled: 1-line block ×4, first 2 shown]
	s_delay_alu instid0(VALU_DEP_4) | instskip(NEXT) | instid1(VALU_DEP_4)
	v_fma_f32 v0, v1, v44, -v0
	v_fmac_f32_e32 v43, v2, v44
	v_mul_f32_e32 v1, v6, v30
	v_mul_f32_e32 v2, v5, v30
	;; [unrolled: 1-line block ×3, first 2 shown]
	v_fmac_f32_e32 v47, v4, v46
	v_fma_f32 v3, v3, v46, -v45
	s_delay_alu instid0(VALU_DEP_4) | instskip(NEXT) | instid1(VALU_DEP_4)
	v_fmac_f32_e32 v2, v6, v29
	v_fma_f32 v4, v7, v31, -v30
	v_mul_f32_e32 v6, v11, v36
	v_fma_f32 v1, v5, v29, -v1
	v_dual_mul_f32 v30, v9, v34 :: v_dual_mul_f32 v5, v12, v36
	s_delay_alu instid0(VALU_DEP_3) | instskip(NEXT) | instid1(VALU_DEP_3)
	v_dual_mul_f32 v7, v7, v32 :: v_dual_fmac_f32 v6, v12, v35
	v_add_f32_e32 v12, v1, v4
	s_delay_alu instid0(VALU_DEP_3) | instskip(NEXT) | instid1(VALU_DEP_4)
	v_fmac_f32_e32 v30, v10, v33
	v_fma_f32 v5, v11, v35, -v5
	v_mul_f32_e32 v29, v10, v34
	v_dual_fmac_f32 v7, v8, v31 :: v_dual_add_f32 v10, v43, v6
	v_sub_f32_e32 v1, v4, v1
	s_delay_alu instid0(VALU_DEP_3) | instskip(SKIP_2) | instid1(VALU_DEP_3)
	v_fma_f32 v8, v9, v33, -v29
	v_add_f32_e32 v9, v0, v5
	v_dual_sub_f32 v0, v0, v5 :: v_dual_sub_f32 v5, v43, v6
	v_dual_add_f32 v29, v2, v7 :: v_dual_add_f32 v6, v3, v8
	v_add_f32_e32 v11, v47, v30
	v_sub_f32_e32 v3, v3, v8
	v_sub_f32_e32 v8, v47, v30
	;; [unrolled: 1-line block ×3, first 2 shown]
	s_delay_alu instid0(VALU_DEP_4) | instskip(SKIP_3) | instid1(VALU_DEP_4)
	v_dual_add_f32 v4, v6, v9 :: v_dual_add_f32 v7, v11, v10
	v_dual_sub_f32 v30, v6, v9 :: v_dual_sub_f32 v31, v11, v10
	v_add_f32_e32 v32, v1, v3
	v_dual_sub_f32 v10, v10, v29 :: v_dual_sub_f32 v11, v29, v11
	v_add_f32_e32 v4, v12, v4
	v_dual_add_f32 v33, v2, v8 :: v_dual_sub_f32 v34, v1, v3
	v_add_f32_e32 v7, v29, v7
	v_dual_sub_f32 v9, v9, v12 :: v_dual_sub_f32 v6, v12, v6
	v_dual_sub_f32 v35, v2, v8 :: v_dual_sub_f32 v2, v5, v2
	v_dual_sub_f32 v1, v0, v1 :: v_dual_mul_f32 v10, 0x3f4a47b2, v10
	v_dual_sub_f32 v3, v3, v0 :: v_dual_sub_f32 v8, v8, v5
	v_dual_add_f32 v0, v32, v0 :: v_dual_add_f32 v5, v33, v5
	v_dual_add_f32 v12, v64, v4 :: v_dual_add_f32 v29, v65, v7
	v_mul_f32_e32 v32, 0x3d64c772, v6
	v_dual_mul_f32 v34, 0xbf08b237, v34 :: v_dual_mul_f32 v35, 0xbf08b237, v35
	s_delay_alu instid0(VALU_DEP_3) | instskip(SKIP_4) | instid1(VALU_DEP_4)
	v_dual_fmamk_f32 v4, v4, 0xbf955555, v12 :: v_dual_fmamk_f32 v7, v7, 0xbf955555, v29
	v_mul_f32_e32 v9, 0x3f4a47b2, v9
	v_mul_f32_e32 v33, 0x3d64c772, v11
	v_dual_mul_f32 v36, 0x3f5ff5aa, v3 :: v_dual_mul_f32 v43, 0x3f5ff5aa, v8
	v_fma_f32 v32, 0x3f3bfb3b, v30, -v32
	v_dual_fmamk_f32 v6, v6, 0x3d64c772, v9 :: v_dual_fmamk_f32 v11, v11, 0x3d64c772, v10
	s_delay_alu instid0(VALU_DEP_4) | instskip(SKIP_1) | instid1(VALU_DEP_4)
	v_fma_f32 v33, 0x3f3bfb3b, v31, -v33
	v_fma_f32 v10, 0xbf3bfb3b, v31, -v10
	v_dual_add_f32 v32, v32, v4 :: v_dual_fmamk_f32 v31, v2, 0x3eae86e6, v35
	v_fma_f32 v2, 0xbeae86e6, v2, -v43
	v_add_f32_e32 v6, v6, v4
	v_fma_f32 v9, 0xbf3bfb3b, v30, -v9
	v_fmamk_f32 v30, v1, 0x3eae86e6, v34
	v_fma_f32 v3, 0x3f5ff5aa, v3, -v34
	v_fma_f32 v8, 0x3f5ff5aa, v8, -v35
	;; [unrolled: 1-line block ×3, first 2 shown]
	v_dual_add_f32 v11, v11, v7 :: v_dual_add_f32 v4, v9, v4
	v_dual_add_f32 v33, v33, v7 :: v_dual_fmac_f32 v30, 0x3ee1c552, v0
	v_dual_add_f32 v7, v10, v7 :: v_dual_fmac_f32 v2, 0x3ee1c552, v5
	v_fmac_f32_e32 v31, 0x3ee1c552, v5
	v_dual_fmac_f32 v3, 0x3ee1c552, v0 :: v_dual_fmac_f32 v8, 0x3ee1c552, v5
	v_fmac_f32_e32 v1, 0x3ee1c552, v0
	s_delay_alu instid0(VALU_DEP_3)
	v_dual_add_f32 v10, v2, v4 :: v_dual_add_f32 v5, v31, v6
	s_wait_loadcnt 0xc
	v_dual_mul_f32 v0, v25, v28 :: v_dual_sub_f32 v9, v11, v30
	v_sub_f32_e32 v35, v32, v8
	v_add_f32_e32 v32, v8, v32
	v_add_f32_e32 v36, v3, v33
	v_sub_f32_e32 v34, v7, v1
	v_mul_f32_e32 v8, v26, v28
	v_fmac_f32_e32 v0, v26, v27
	v_sub_f32_e32 v26, v33, v3
	v_dual_sub_f32 v28, v4, v2 :: v_dual_add_f32 v33, v1, v7
	s_delay_alu instid0(VALU_DEP_4) | instskip(NEXT) | instid1(VALU_DEP_4)
	v_fma_f32 v2, v25, v27, -v8
	v_mul_f32_e32 v1, v12, v0
	s_wait_loadcnt 0xa
	v_dual_sub_f32 v25, v6, v31 :: v_dual_mul_f32 v4, v17, v20
	v_add_f32_e32 v27, v30, v11
	s_delay_alu instid0(VALU_DEP_3) | instskip(NEXT) | instid1(VALU_DEP_3)
	v_fmac_f32_e32 v1, v29, v2
	v_dual_mul_f32 v3, v29, v0 :: v_dual_fmac_f32 v4, v18, v19
	v_add_nc_u32_e32 v29, 60, v106
	s_delay_alu instid0(VALU_DEP_2) | instskip(SKIP_4) | instid1(VALU_DEP_2)
	v_fma_f32 v0, v12, v2, -v3
	s_wait_loadcnt 0x8
	v_dual_mul_f32 v3, v18, v20 :: v_dual_mul_f32 v2, v51, v53
	s_wait_loadcnt 0x6
	v_mul_f32_e32 v12, v37, v40
	v_fma_f32 v7, v17, v19, -v3
	s_wait_loadcnt 0x4
	v_mul_f32_e32 v17, v41, v49
	v_dual_mul_f32 v6, v50, v53 :: v_dual_mul_f32 v3, v5, v4
	v_fma_f32 v11, v50, v52, -v2
	s_delay_alu instid0(VALU_DEP_3) | instskip(NEXT) | instid1(VALU_DEP_3)
	v_fmac_f32_e32 v17, v42, v48
	v_dual_fmac_f32 v6, v51, v52 :: v_dual_fmac_f32 v3, v9, v7
	v_dual_mul_f32 v8, v9, v4 :: v_dual_mul_f32 v9, v42, v49
	s_wait_loadcnt 0x2
	v_mul_f32_e32 v18, v22, v24
	s_delay_alu instid0(VALU_DEP_2) | instskip(SKIP_2) | instid1(VALU_DEP_2)
	v_fma_f32 v2, v5, v7, -v8
	v_mul_f32_e32 v7, v38, v40
	v_mul_f32_e32 v5, v10, v6
	v_fma_f32 v8, v37, v39, -v7
	v_fmac_f32_e32 v12, v38, v39
	v_mul_f32_e32 v4, v34, v6
	s_delay_alu instid0(VALU_DEP_4) | instskip(NEXT) | instid1(VALU_DEP_3)
	v_fmac_f32_e32 v5, v34, v11
	v_mul_f32_e32 v7, v35, v12
	s_delay_alu instid0(VALU_DEP_3)
	v_fma_f32 v4, v10, v11, -v4
	v_mul_f32_e32 v10, v26, v17
	v_mul_f32_e32 v11, v32, v17
	v_fma_f32 v30, v21, v23, -v18
	v_fmac_f32_e32 v7, v36, v8
	v_mul_f32_e32 v6, v36, v12
	v_fma_f32 v12, v41, v48, -v9
	v_mad_co_u64_u32 v[17:18], null, s4, v29, 0
	v_mul_f32_e32 v24, v21, v24
	s_delay_alu instid0(VALU_DEP_4)
	v_fma_f32 v6, v35, v8, -v6
	v_mad_co_u64_u32 v[8:9], null, s4, v107, 0
	v_fma_f32 v10, v32, v12, -v10
	v_fmac_f32_e32 v11, v26, v12
	s_wait_loadcnt 0x0
	v_mul_f32_e32 v12, v13, v16
	s_delay_alu instid0(VALU_DEP_3) | instskip(SKIP_2) | instid1(VALU_DEP_2)
	v_mad_co_u64_u32 v[19:20], null, s5, v107, v[9:10]
	v_mov_b32_e32 v9, v18
	v_fmac_f32_e32 v24, v22, v23
	v_mad_co_u64_u32 v[22:23], null, s5, v29, v[9:10]
	s_delay_alu instid0(VALU_DEP_4) | instskip(SKIP_1) | instid1(VALU_DEP_4)
	v_mov_b32_e32 v9, v19
	v_add_nc_u32_e32 v23, 0x5c, v106
	v_dual_mul_f32 v21, v33, v24 :: v_dual_fmac_f32 v12, v14, v15
	s_delay_alu instid0(VALU_DEP_3) | instskip(SKIP_1) | instid1(VALU_DEP_3)
	v_lshlrev_b64_e32 v[8:9], 3, v[8:9]
	v_mov_b32_e32 v18, v22
	v_fma_f32 v20, v28, v30, -v21
	v_mul_f32_e32 v21, v28, v24
	v_mul_f32_e32 v16, v14, v16
	v_add_nc_u32_e32 v22, 0xbc, v106
	v_add_co_u32 v8, vcc_lo, v54, v8
	s_delay_alu instid0(VALU_DEP_4) | instskip(NEXT) | instid1(VALU_DEP_4)
	v_fmac_f32_e32 v21, v33, v30
	v_fma_f32 v19, v13, v15, -v16
	v_mul_f32_e32 v16, v27, v12
	v_dual_mul_f32 v13, v25, v12 :: v_dual_add_nc_u32 v24, 0xdc, v106
	v_mad_co_u64_u32 v[14:15], null, s4, v23, 0
	s_delay_alu instid0(VALU_DEP_3)
	v_fma_f32 v12, v25, v19, -v16
	v_lshlrev_b64_e32 v[16:17], 3, v[17:18]
	s_wait_alu 0xfffd
	v_add_co_ci_u32_e32 v9, vcc_lo, v55, v9, vcc_lo
	v_add_nc_u32_e32 v18, 0x7c, v106
	global_store_b64 v[8:9], v[0:1], off
	v_add_co_u32 v8, vcc_lo, v54, v16
	v_mov_b32_e32 v0, v15
	s_wait_alu 0xfffd
	v_add_co_ci_u32_e32 v9, vcc_lo, v55, v17, vcc_lo
	v_mad_co_u64_u32 v[16:17], null, s4, v18, 0
	s_delay_alu instid0(VALU_DEP_3)
	v_mad_co_u64_u32 v[0:1], null, s5, v23, v[0:1]
	global_store_b64 v[8:9], v[2:3], off
	v_mad_co_u64_u32 v[8:9], null, s4, v22, 0
	v_fmac_f32_e32 v13, v27, v19
	v_add_nc_u32_e32 v19, 0x9c, v106
	v_dual_mov_b32 v15, v0 :: v_dual_mov_b32 v0, v17
	s_delay_alu instid0(VALU_DEP_2) | instskip(NEXT) | instid1(VALU_DEP_1)
	v_mad_co_u64_u32 v[1:2], null, s4, v19, 0
	v_mad_co_u64_u32 v[17:18], null, s5, v18, v[0:1]
	s_delay_alu instid0(VALU_DEP_2) | instskip(SKIP_2) | instid1(VALU_DEP_1)
	v_mad_co_u64_u32 v[2:3], null, s5, v19, v[2:3]
	v_mad_co_u64_u32 v[18:19], null, s4, v24, 0
	v_mov_b32_e32 v0, v9
	v_mad_co_u64_u32 v[22:23], null, s5, v22, v[0:1]
	s_delay_alu instid0(VALU_DEP_3) | instskip(SKIP_2) | instid1(VALU_DEP_4)
	v_mov_b32_e32 v0, v19
	v_lshlrev_b64_e32 v[14:15], 3, v[14:15]
	v_lshlrev_b64_e32 v[1:2], 3, v[1:2]
	v_mov_b32_e32 v9, v22
	s_delay_alu instid0(VALU_DEP_3) | instskip(SKIP_1) | instid1(VALU_DEP_4)
	v_add_co_u32 v14, vcc_lo, v54, v14
	s_wait_alu 0xfffd
	v_add_co_ci_u32_e32 v15, vcc_lo, v55, v15, vcc_lo
	s_delay_alu instid0(VALU_DEP_3) | instskip(SKIP_3) | instid1(VALU_DEP_2)
	v_lshlrev_b64_e32 v[8:9], 3, v[8:9]
	global_store_b64 v[14:15], v[4:5], off
	v_mad_co_u64_u32 v[14:15], null, s5, v24, v[0:1]
	v_lshlrev_b64_e32 v[3:4], 3, v[16:17]
	v_mov_b32_e32 v19, v14
	s_delay_alu instid0(VALU_DEP_2) | instskip(SKIP_1) | instid1(VALU_DEP_3)
	v_add_co_u32 v3, vcc_lo, v54, v3
	s_wait_alu 0xfffd
	v_add_co_ci_u32_e32 v4, vcc_lo, v55, v4, vcc_lo
	v_add_co_u32 v0, vcc_lo, v54, v1
	v_lshlrev_b64_e32 v[14:15], 3, v[18:19]
	s_wait_alu 0xfffd
	v_add_co_ci_u32_e32 v1, vcc_lo, v55, v2, vcc_lo
	v_add_co_u32 v8, vcc_lo, v54, v8
	s_wait_alu 0xfffd
	v_add_co_ci_u32_e32 v9, vcc_lo, v55, v9, vcc_lo
	v_add_co_u32 v14, vcc_lo, v54, v14
	s_wait_alu 0xfffd
	v_add_co_ci_u32_e32 v15, vcc_lo, v55, v15, vcc_lo
	s_clause 0x3
	global_store_b64 v[3:4], v[6:7], off
	global_store_b64 v[0:1], v[10:11], off
	;; [unrolled: 1-line block ×4, first 2 shown]
	s_nop 0
	s_sendmsg sendmsg(MSG_DEALLOC_VGPRS)
	s_endpgm
	.section	.rodata,"a",@progbits
	.p2align	6, 0x0
	.amdhsa_kernel fft_rtc_fwd_len224_factors_2_2_2_4_7_wgs_196_tpt_14_dim3_sp_ip_CI_sbcc_twdbase8_2step_dirReg
		.amdhsa_group_segment_fixed_size 0
		.amdhsa_private_segment_fixed_size 0
		.amdhsa_kernarg_size 88
		.amdhsa_user_sgpr_count 2
		.amdhsa_user_sgpr_dispatch_ptr 0
		.amdhsa_user_sgpr_queue_ptr 0
		.amdhsa_user_sgpr_kernarg_segment_ptr 1
		.amdhsa_user_sgpr_dispatch_id 0
		.amdhsa_user_sgpr_private_segment_size 0
		.amdhsa_wavefront_size32 1
		.amdhsa_uses_dynamic_stack 0
		.amdhsa_enable_private_segment 0
		.amdhsa_system_sgpr_workgroup_id_x 1
		.amdhsa_system_sgpr_workgroup_id_y 0
		.amdhsa_system_sgpr_workgroup_id_z 0
		.amdhsa_system_sgpr_workgroup_info 0
		.amdhsa_system_vgpr_workitem_id 0
		.amdhsa_next_free_vgpr 140
		.amdhsa_next_free_sgpr 25
		.amdhsa_reserve_vcc 1
		.amdhsa_float_round_mode_32 0
		.amdhsa_float_round_mode_16_64 0
		.amdhsa_float_denorm_mode_32 3
		.amdhsa_float_denorm_mode_16_64 3
		.amdhsa_fp16_overflow 0
		.amdhsa_workgroup_processor_mode 1
		.amdhsa_memory_ordered 1
		.amdhsa_forward_progress 0
		.amdhsa_round_robin_scheduling 0
		.amdhsa_exception_fp_ieee_invalid_op 0
		.amdhsa_exception_fp_denorm_src 0
		.amdhsa_exception_fp_ieee_div_zero 0
		.amdhsa_exception_fp_ieee_overflow 0
		.amdhsa_exception_fp_ieee_underflow 0
		.amdhsa_exception_fp_ieee_inexact 0
		.amdhsa_exception_int_div_zero 0
	.end_amdhsa_kernel
	.text
.Lfunc_end0:
	.size	fft_rtc_fwd_len224_factors_2_2_2_4_7_wgs_196_tpt_14_dim3_sp_ip_CI_sbcc_twdbase8_2step_dirReg, .Lfunc_end0-fft_rtc_fwd_len224_factors_2_2_2_4_7_wgs_196_tpt_14_dim3_sp_ip_CI_sbcc_twdbase8_2step_dirReg
                                        ; -- End function
	.section	.AMDGPU.csdata,"",@progbits
; Kernel info:
; codeLenInByte = 14088
; NumSgprs: 27
; NumVgprs: 140
; ScratchSize: 0
; MemoryBound: 0
; FloatMode: 240
; IeeeMode: 1
; LDSByteSize: 0 bytes/workgroup (compile time only)
; SGPRBlocks: 3
; VGPRBlocks: 17
; NumSGPRsForWavesPerEU: 27
; NumVGPRsForWavesPerEU: 140
; Occupancy: 10
; WaveLimiterHint : 1
; COMPUTE_PGM_RSRC2:SCRATCH_EN: 0
; COMPUTE_PGM_RSRC2:USER_SGPR: 2
; COMPUTE_PGM_RSRC2:TRAP_HANDLER: 0
; COMPUTE_PGM_RSRC2:TGID_X_EN: 1
; COMPUTE_PGM_RSRC2:TGID_Y_EN: 0
; COMPUTE_PGM_RSRC2:TGID_Z_EN: 0
; COMPUTE_PGM_RSRC2:TIDIG_COMP_CNT: 0
	.text
	.p2alignl 7, 3214868480
	.fill 96, 4, 3214868480
	.type	__hip_cuid_c20e20a3f1678698,@object ; @__hip_cuid_c20e20a3f1678698
	.section	.bss,"aw",@nobits
	.globl	__hip_cuid_c20e20a3f1678698
__hip_cuid_c20e20a3f1678698:
	.byte	0                               ; 0x0
	.size	__hip_cuid_c20e20a3f1678698, 1

	.ident	"AMD clang version 19.0.0git (https://github.com/RadeonOpenCompute/llvm-project roc-6.4.0 25133 c7fe45cf4b819c5991fe208aaa96edf142730f1d)"
	.section	".note.GNU-stack","",@progbits
	.addrsig
	.addrsig_sym __hip_cuid_c20e20a3f1678698
	.amdgpu_metadata
---
amdhsa.kernels:
  - .args:
      - .actual_access:  read_only
        .address_space:  global
        .offset:         0
        .size:           8
        .value_kind:     global_buffer
      - .address_space:  global
        .offset:         8
        .size:           8
        .value_kind:     global_buffer
      - .actual_access:  read_only
        .address_space:  global
        .offset:         16
        .size:           8
        .value_kind:     global_buffer
      - .actual_access:  read_only
        .address_space:  global
        .offset:         24
        .size:           8
        .value_kind:     global_buffer
      - .offset:         32
        .size:           8
        .value_kind:     by_value
      - .actual_access:  read_only
        .address_space:  global
        .offset:         40
        .size:           8
        .value_kind:     global_buffer
      - .actual_access:  read_only
        .address_space:  global
        .offset:         48
        .size:           8
        .value_kind:     global_buffer
      - .offset:         56
        .size:           4
        .value_kind:     by_value
      - .actual_access:  read_only
        .address_space:  global
        .offset:         64
        .size:           8
        .value_kind:     global_buffer
      - .actual_access:  read_only
        .address_space:  global
        .offset:         72
        .size:           8
        .value_kind:     global_buffer
      - .address_space:  global
        .offset:         80
        .size:           8
        .value_kind:     global_buffer
    .group_segment_fixed_size: 0
    .kernarg_segment_align: 8
    .kernarg_segment_size: 88
    .language:       OpenCL C
    .language_version:
      - 2
      - 0
    .max_flat_workgroup_size: 196
    .name:           fft_rtc_fwd_len224_factors_2_2_2_4_7_wgs_196_tpt_14_dim3_sp_ip_CI_sbcc_twdbase8_2step_dirReg
    .private_segment_fixed_size: 0
    .sgpr_count:     27
    .sgpr_spill_count: 0
    .symbol:         fft_rtc_fwd_len224_factors_2_2_2_4_7_wgs_196_tpt_14_dim3_sp_ip_CI_sbcc_twdbase8_2step_dirReg.kd
    .uniform_work_group_size: 1
    .uses_dynamic_stack: false
    .vgpr_count:     140
    .vgpr_spill_count: 0
    .wavefront_size: 32
    .workgroup_processor_mode: 1
amdhsa.target:   amdgcn-amd-amdhsa--gfx1201
amdhsa.version:
  - 1
  - 2
...

	.end_amdgpu_metadata
